;; amdgpu-corpus repo=ROCm/rocFFT kind=compiled arch=gfx1100 opt=O3
	.text
	.amdgcn_target "amdgcn-amd-amdhsa--gfx1100"
	.amdhsa_code_object_version 6
	.protected	bluestein_single_back_len1377_dim1_dp_op_CI_CI ; -- Begin function bluestein_single_back_len1377_dim1_dp_op_CI_CI
	.globl	bluestein_single_back_len1377_dim1_dp_op_CI_CI
	.p2align	8
	.type	bluestein_single_back_len1377_dim1_dp_op_CI_CI,@function
bluestein_single_back_len1377_dim1_dp_op_CI_CI: ; @bluestein_single_back_len1377_dim1_dp_op_CI_CI
; %bb.0:
	s_load_b128 s[16:19], s[0:1], 0x28
	v_mul_u32_u24_e32 v1, 0x506, v0
	s_mov_b32 s2, exec_lo
	v_mov_b32_e32 v17, 0
	s_delay_alu instid0(VALU_DEP_2) | instskip(NEXT) | instid1(VALU_DEP_1)
	v_lshrrev_b32_e32 v1, 16, v1
	v_add_nc_u32_e32 v16, s15, v1
	s_waitcnt lgkmcnt(0)
	s_delay_alu instid0(VALU_DEP_1)
	v_cmpx_gt_u64_e64 s[16:17], v[16:17]
	s_cbranch_execz .LBB0_15
; %bb.1:
	s_clause 0x1
	s_load_b128 s[4:7], s[0:1], 0x18
	s_load_b64 s[12:13], s[0:1], 0x0
	v_mul_lo_u16 v1, v1, 51
	v_mov_b32_e32 v5, v16
	s_delay_alu instid0(VALU_DEP_2) | instskip(NEXT) | instid1(VALU_DEP_1)
	v_sub_nc_u16 v2, v0, v1
	v_and_b32_e32 v15, 0xffff, v2
	s_delay_alu instid0(VALU_DEP_1)
	v_lshlrev_b32_e32 v200, 4, v15
	s_waitcnt lgkmcnt(0)
	s_load_b128 s[8:11], s[4:5], 0x0
	s_clause 0x3
	global_load_b128 v[143:146], v200, s[12:13]
	global_load_b128 v[151:154], v200, s[12:13] offset:1296
	global_load_b128 v[147:150], v200, s[12:13] offset:2592
	global_load_b128 v[139:142], v200, s[12:13] offset:3888
	v_add_co_u32 v7, s2, s12, v200
	s_delay_alu instid0(VALU_DEP_1)
	v_add_co_ci_u32_e64 v8, null, s13, 0, s2
	scratch_store_b64 off, v[5:6], off offset:164 ; 8-byte Folded Spill
	v_add_co_u32 v13, vcc_lo, 0x1000, v7
	scratch_store_b64 off, v[7:8], off offset:140 ; 8-byte Folded Spill
	v_add_co_ci_u32_e32 v14, vcc_lo, 0, v8, vcc_lo
	v_add_co_u32 v11, vcc_lo, 0x2000, v7
	v_add_co_ci_u32_e32 v12, vcc_lo, 0, v8, vcc_lo
	v_add_co_u32 v9, vcc_lo, 0x3000, v7
	v_add_co_ci_u32_e32 v10, vcc_lo, 0, v8, vcc_lo
	s_waitcnt lgkmcnt(0)
	v_mad_u64_u32 v[0:1], null, s10, v16, 0
	v_mad_u64_u32 v[3:4], null, s8, v15, 0
	v_add_co_u32 v65, vcc_lo, 0x4000, v7
	v_add_co_ci_u32_e32 v66, vcc_lo, 0, v8, vcc_lo
	s_delay_alu instid0(VALU_DEP_4) | instskip(SKIP_4) | instid1(VALU_DEP_3)
	v_mad_u64_u32 v[5:6], null, s11, v16, v[1:2]
	v_add_co_u32 v67, vcc_lo, 0x5000, v7
	v_add_co_ci_u32_e32 v68, vcc_lo, 0, v8, vcc_lo
	s_mul_i32 s3, s9, 0x51
	s_mul_hi_u32 s4, s8, 0x51
	v_mad_u64_u32 v[6:7], null, s9, v15, v[4:5]
	v_mov_b32_e32 v1, v5
	s_mul_i32 s2, s8, 0x51
	s_add_i32 s3, s4, s3
	s_delay_alu instid0(SALU_CYCLE_1) | instskip(NEXT) | instid1(VALU_DEP_1)
	s_lshl_b64 s[14:15], s[2:3], 4
	v_lshlrev_b64 v[0:1], 4, v[0:1]
	s_delay_alu instid0(VALU_DEP_3)
	v_mov_b32_e32 v4, v6
	scratch_store_b32 off, v15, off         ; 4-byte Folded Spill
	s_clause 0x1
	global_load_b128 v[205:208], v[13:14], off offset:1088
	global_load_b128 v[201:204], v[13:14], off offset:2384
	scratch_store_b64 off, v[13:14], off offset:156 ; 8-byte Folded Spill
	s_clause 0x2
	global_load_b128 v[183:186], v[13:14], off offset:3680
	global_load_b128 v[179:182], v[11:12], off offset:880
	;; [unrolled: 1-line block ×3, first 2 shown]
	v_lshlrev_b64 v[3:4], 4, v[3:4]
	v_add_co_u32 v0, vcc_lo, s18, v0
	v_add_co_ci_u32_e32 v1, vcc_lo, s19, v1, vcc_lo
	scratch_store_b64 off, v[11:12], off offset:148 ; 8-byte Folded Spill
	v_add_co_u32 v0, vcc_lo, v0, v3
	v_add_co_ci_u32_e32 v1, vcc_lo, v1, v4, vcc_lo
	global_load_b128 v[167:170], v[11:12], off offset:3472
	v_add_co_u32 v7, vcc_lo, v0, s14
	v_add_co_ci_u32_e32 v8, vcc_lo, s15, v1, vcc_lo
	s_clause 0x1
	global_load_b128 v[171:174], v[9:10], off offset:672
	global_load_b128 v[155:158], v[9:10], off offset:1968
	v_add_co_u32 v11, vcc_lo, v7, s14
	v_add_co_ci_u32_e32 v12, vcc_lo, s15, v8, vcc_lo
	scratch_store_b64 off, v[9:10], off offset:124 ; 8-byte Folded Spill
	v_add_co_u32 v15, vcc_lo, v11, s14
	v_add_co_ci_u32_e32 v16, vcc_lo, s15, v12, vcc_lo
	s_clause 0x1
	global_load_b128 v[163:166], v[9:10], off offset:3264
	global_load_b128 v[159:162], v[65:66], off offset:464
	s_clause 0x1
	global_load_b128 v[3:6], v[0:1], off
	global_load_b128 v[7:10], v[7:8], off
	v_add_co_u32 v0, vcc_lo, v15, s14
	v_add_co_ci_u32_e32 v1, vcc_lo, s15, v16, vcc_lo
	s_clause 0x1
	global_load_b128 v[11:14], v[11:12], off
	global_load_b128 v[15:18], v[15:16], off
	v_add_co_u32 v23, vcc_lo, v0, s14
	v_add_co_ci_u32_e32 v24, vcc_lo, s15, v1, vcc_lo
	global_load_b128 v[19:22], v[0:1], off
	v_add_co_u32 v0, vcc_lo, v23, s14
	v_add_co_ci_u32_e32 v1, vcc_lo, s15, v24, vcc_lo
	global_load_b128 v[191:194], v[65:66], off offset:1760
	v_add_co_u32 v31, vcc_lo, v0, s14
	v_add_co_ci_u32_e32 v32, vcc_lo, s15, v1, vcc_lo
	global_load_b128 v[27:30], v[0:1], off
	v_add_co_u32 v0, vcc_lo, v31, s14
	v_add_co_ci_u32_e32 v1, vcc_lo, s15, v32, vcc_lo
	scratch_store_b64 off, v[65:66], off offset:116 ; 8-byte Folded Spill
	v_add_co_u32 v39, vcc_lo, v0, s14
	v_add_co_ci_u32_e32 v40, vcc_lo, s15, v1, vcc_lo
	global_load_b128 v[35:38], v[0:1], off
	v_add_co_u32 v0, vcc_lo, v39, s14
	v_add_co_ci_u32_e32 v1, vcc_lo, s15, v40, vcc_lo
	global_load_b128 v[23:26], v[23:24], off
	;; [unrolled: 3-line block ×8, first 2 shown]
	global_load_b128 v[47:50], v[47:48], off
	global_load_b128 v[187:190], v[65:66], off offset:3056
	global_load_b128 v[63:66], v[63:64], off
	scratch_store_b64 off, v[67:68], off offset:132 ; 8-byte Folded Spill
	global_load_b128 v[195:198], v[67:68], off offset:256
	global_load_b128 v[67:70], v[0:1], off
	v_cmp_gt_u16_e32 vcc_lo, 30, v2
	s_waitcnt vmcnt(33)
	scratch_store_b128 off, v[143:146], off offset:188 ; 16-byte Folded Spill
	s_waitcnt vmcnt(32)
	scratch_store_b128 off, v[151:154], off offset:220 ; 16-byte Folded Spill
	;; [unrolled: 2-line block ×14, first 2 shown]
	s_waitcnt vmcnt(19)
	v_mul_f64 v[71:72], v[5:6], v[145:146]
	v_mul_f64 v[73:74], v[3:4], v[145:146]
	s_waitcnt vmcnt(18)
	v_mul_f64 v[75:76], v[9:10], v[153:154]
	v_mul_f64 v[77:78], v[7:8], v[153:154]
	;; [unrolled: 3-line block ×5, first 2 shown]
	s_waitcnt vmcnt(14)
	scratch_store_b128 off, v[191:194], off offset:380 ; 16-byte Folded Spill
	s_waitcnt vmcnt(13)
	v_mul_f64 v[95:96], v[29:30], v[185:186]
	v_mul_f64 v[97:98], v[27:28], v[185:186]
	s_waitcnt vmcnt(12)
	v_mul_f64 v[103:104], v[37:38], v[177:178]
	v_mul_f64 v[105:106], v[35:36], v[177:178]
	;; [unrolled: 3-line block ×3, first 2 shown]
	v_fma_f64 v[3:4], v[3:4], v[143:144], v[71:72]
	v_fma_f64 v[5:6], v[5:6], v[143:144], -v[73:74]
	s_waitcnt vmcnt(10)
	v_mul_f64 v[111:112], v[45:46], v[173:174]
	v_mul_f64 v[113:114], v[43:44], v[173:174]
	v_fma_f64 v[7:8], v[7:8], v[151:152], v[75:76]
	v_fma_f64 v[9:10], v[9:10], v[151:152], -v[77:78]
	v_fma_f64 v[11:12], v[11:12], v[147:148], v[79:80]
	s_waitcnt vmcnt(9)
	v_mul_f64 v[99:100], v[33:34], v[181:182]
	v_mul_f64 v[101:102], v[31:32], v[181:182]
	v_fma_f64 v[13:14], v[13:14], v[147:148], -v[81:82]
	v_fma_f64 v[15:16], v[15:16], v[139:140], v[83:84]
	v_fma_f64 v[17:18], v[17:18], v[139:140], -v[85:86]
	s_waitcnt vmcnt(8)
	v_mul_f64 v[119:120], v[53:54], v[165:166]
	v_mul_f64 v[121:122], v[51:52], v[165:166]
	v_fma_f64 v[19:20], v[19:20], v[205:206], v[87:88]
	v_fma_f64 v[21:22], v[21:22], v[205:206], -v[89:90]
	s_waitcnt vmcnt(7)
	v_mul_f64 v[123:124], v[57:58], v[161:162]
	v_mul_f64 v[125:126], v[55:56], v[161:162]
	;; [unrolled: 5-line block ×3, first 2 shown]
	s_waitcnt vmcnt(5)
	v_mul_f64 v[107:108], v[41:42], v[169:170]
	s_waitcnt vmcnt(3)
	scratch_store_b128 off, v[187:190], off offset:364 ; 16-byte Folded Spill
	s_waitcnt vmcnt(2)
	v_mul_f64 v[131:132], v[65:66], v[189:190]
	v_mul_f64 v[133:134], v[63:64], v[189:190]
	s_waitcnt vmcnt(0)
	v_mul_f64 v[135:136], v[69:70], v[197:198]
	v_mul_f64 v[137:138], v[67:68], v[197:198]
	;; [unrolled: 1-line block ×5, first 2 shown]
	v_fma_f64 v[23:24], v[23:24], v[201:202], v[91:92]
	v_fma_f64 v[25:26], v[25:26], v[201:202], -v[93:94]
	v_fma_f64 v[35:36], v[35:36], v[175:176], v[103:104]
	v_fma_f64 v[37:38], v[37:38], v[175:176], -v[105:106]
	;; [unrolled: 2-line block ×3, first 2 shown]
	scratch_store_b128 off, v[195:198], off offset:396 ; 16-byte Folded Spill
	s_load_b64 s[10:11], s[0:1], 0x38
	s_load_b128 s[4:7], s[6:7], 0x0
	v_fma_f64 v[31:32], v[31:32], v[179:180], v[99:100]
	v_fma_f64 v[33:34], v[33:34], v[179:180], -v[101:102]
	v_fma_f64 v[51:52], v[51:52], v[163:164], v[119:120]
	v_fma_f64 v[53:54], v[53:54], v[163:164], -v[121:122]
	;; [unrolled: 2-line block ×4, first 2 shown]
	v_fma_f64 v[39:40], v[39:40], v[167:168], v[107:108]
	v_fma_f64 v[63:64], v[63:64], v[187:188], v[131:132]
	v_fma_f64 v[65:66], v[65:66], v[187:188], -v[133:134]
	v_fma_f64 v[67:68], v[67:68], v[195:196], v[135:136]
	v_fma_f64 v[69:70], v[69:70], v[195:196], -v[137:138]
	v_fma_f64 v[41:42], v[41:42], v[167:168], -v[109:110]
	v_fma_f64 v[47:48], v[47:48], v[155:156], v[115:116]
	v_fma_f64 v[49:50], v[49:50], v[155:156], -v[117:118]
	ds_store_b128 v200, v[3:6]
	ds_store_b128 v200, v[7:10] offset:1296
	ds_store_b128 v200, v[11:14] offset:2592
	;; [unrolled: 1-line block ×16, first 2 shown]
	s_and_saveexec_b32 s3, vcc_lo
	s_cbranch_execz .LBB0_3
; %bb.2:
	scratch_load_b64 v[8:9], off, off offset:140 ; 8-byte Folded Reload
	v_mad_u64_u32 v[28:29], null, 0xffffb230, s8, v[0:1]
	s_mul_i32 s2, s9, 0xffffb230
	s_waitcnt vmcnt(0)
	s_clause 0x1
	global_load_b128 v[0:3], v[8:9], off offset:816
	global_load_b128 v[4:7], v[8:9], off offset:2112
	scratch_load_b64 v[20:21], off, off offset:156 ; 8-byte Folded Reload
	global_load_b128 v[8:11], v[8:9], off offset:3408
	s_sub_i32 s2, s2, s8
	s_waitcnt vmcnt(1)
	s_clause 0x2
	global_load_b128 v[12:15], v[20:21], off offset:608
	global_load_b128 v[16:19], v[20:21], off offset:1904
	global_load_b128 v[20:23], v[20:21], off offset:3200
	scratch_load_b64 v[68:69], off, off offset:148 ; 8-byte Folded Reload
	v_add_nc_u32_e32 v29, s2, v29
	v_add_co_u32 v32, s2, v28, s14
	s_delay_alu instid0(VALU_DEP_1) | instskip(NEXT) | instid1(VALU_DEP_2)
	v_add_co_ci_u32_e64 v33, s2, s15, v29, s2
	v_add_co_u32 v36, s2, v32, s14
	global_load_b128 v[28:31], v[28:29], off
	v_add_co_ci_u32_e64 v37, s2, s15, v33, s2
	v_add_co_u32 v40, s2, v36, s14
	global_load_b128 v[32:35], v[32:33], off
	;; [unrolled: 3-line block ×4, first 2 shown]
	v_add_co_ci_u32_e64 v49, s2, s15, v45, s2
	v_add_co_u32 v52, s2, v48, s14
	s_delay_alu instid0(VALU_DEP_1) | instskip(NEXT) | instid1(VALU_DEP_2)
	v_add_co_ci_u32_e64 v53, s2, s15, v49, s2
	v_add_co_u32 v56, s2, v52, s14
	s_delay_alu instid0(VALU_DEP_1) | instskip(NEXT) | instid1(VALU_DEP_2)
	;; [unrolled: 3-line block ×10, first 2 shown]
	v_add_co_ci_u32_e64 v121, s2, s15, v113, s2
	v_add_co_u32 v132, s2, v120, s14
	s_delay_alu instid0(VALU_DEP_1)
	v_add_co_ci_u32_e64 v133, s2, s15, v121, s2
	s_waitcnt vmcnt(4)
	global_load_b128 v[24:27], v[68:69], off offset:400
	global_load_b128 v[44:47], v[44:45], off
	global_load_b128 v[48:51], v[48:49], off
	;; [unrolled: 1-line block ×5, first 2 shown]
	s_clause 0x1
	global_load_b128 v[64:67], v[68:69], off offset:1696
	global_load_b128 v[68:71], v[68:69], off offset:2992
	scratch_load_b64 v[100:101], off, off offset:124 ; 8-byte Folded Reload
	global_load_b128 v[72:75], v[72:73], off
	global_load_b128 v[76:79], v[76:77], off
	s_waitcnt vmcnt(2)
	s_clause 0x1
	global_load_b128 v[80:83], v[100:101], off offset:192
	global_load_b128 v[84:87], v[100:101], off offset:1488
	global_load_b128 v[88:91], v[88:89], off
	global_load_b128 v[92:95], v[92:93], off
	s_clause 0x1
	global_load_b128 v[96:99], v[100:101], off offset:2784
	global_load_b128 v[100:103], v[100:101], off offset:4080
	global_load_b128 v[104:107], v[108:109], off
	scratch_load_b64 v[124:125], off, off offset:116 ; 8-byte Folded Reload
	global_load_b128 v[112:115], v[112:113], off
	v_mul_f64 v[136:137], v[30:31], v[2:3]
	v_mul_f64 v[2:3], v[28:29], v[2:3]
	;; [unrolled: 1-line block ×18, first 2 shown]
	v_fma_f64 v[26:27], v[28:29], v[0:1], v[136:137]
	v_fma_f64 v[28:29], v[30:31], v[0:1], -v[2:3]
	v_fma_f64 v[0:1], v[32:33], v[4:5], v[138:139]
	v_fma_f64 v[2:3], v[34:35], v[4:5], -v[6:7]
	;; [unrolled: 2-line block ×9, first 2 shown]
	s_waitcnt vmcnt(4)
	v_mul_f64 v[160:161], v[90:91], v[98:99]
	v_mul_f64 v[156:157], v[74:75], v[82:83]
	;; [unrolled: 1-line block ×3, first 2 shown]
	s_waitcnt vmcnt(1)
	s_clause 0x1
	global_load_b128 v[108:111], v[124:125], off offset:1280
	global_load_b128 v[116:119], v[124:125], off offset:2576
	global_load_b128 v[120:123], v[120:121], off
	global_load_b128 v[124:127], v[124:125], off offset:3872
	scratch_load_b64 v[128:129], off, off offset:132 ; 8-byte Folded Reload
	v_mul_f64 v[158:159], v[78:79], v[86:87]
	v_mul_f64 v[86:87], v[76:77], v[86:87]
	;; [unrolled: 1-line block ×5, first 2 shown]
	s_waitcnt vmcnt(0)
	global_load_b128 v[128:131], v[128:129], off offset:1072
	global_load_b128 v[132:135], v[132:133], off
	v_mul_f64 v[164:165], v[106:107], v[110:111]
	v_mul_f64 v[110:111], v[104:105], v[110:111]
	;; [unrolled: 1-line block ×6, first 2 shown]
	v_fma_f64 v[38:39], v[72:73], v[80:81], v[156:157]
	v_fma_f64 v[40:41], v[74:75], v[80:81], -v[82:83]
	v_fma_f64 v[42:43], v[76:77], v[84:85], v[158:159]
	v_fma_f64 v[44:45], v[78:79], v[84:85], -v[86:87]
	;; [unrolled: 2-line block ×7, first 2 shown]
	s_waitcnt vmcnt(0)
	v_mul_f64 v[170:171], v[134:135], v[130:131]
	v_mul_f64 v[130:131], v[132:133], v[130:131]
	s_delay_alu instid0(VALU_DEP_2) | instskip(NEXT) | instid1(VALU_DEP_2)
	v_fma_f64 v[66:67], v[132:133], v[128:129], v[170:171]
	v_fma_f64 v[68:69], v[134:135], v[128:129], -v[130:131]
	ds_store_b128 v200, v[26:29] offset:816
	ds_store_b128 v200, v[0:3] offset:2112
	;; [unrolled: 1-line block ×17, first 2 shown]
.LBB0_3:
	s_or_b32 exec_lo, exec_lo, s3
	s_waitcnt lgkmcnt(0)
	s_waitcnt_vscnt null, 0x0
	s_barrier
	buffer_gl0_inv
	ds_load_b128 v[68:71], v200
	ds_load_b128 v[72:75], v200 offset:1296
	ds_load_b128 v[76:79], v200 offset:2592
	;; [unrolled: 1-line block ×16, first 2 shown]
	s_load_b64 s[2:3], s[0:1], 0x8
                                        ; implicit-def: $vgpr8_vgpr9
                                        ; implicit-def: $vgpr20_vgpr21
                                        ; implicit-def: $vgpr24_vgpr25
                                        ; implicit-def: $vgpr28_vgpr29
                                        ; implicit-def: $vgpr32_vgpr33
                                        ; implicit-def: $vgpr36_vgpr37
                                        ; implicit-def: $vgpr40_vgpr41
                                        ; implicit-def: $vgpr44_vgpr45
                                        ; implicit-def: $vgpr52_vgpr53
                                        ; implicit-def: $vgpr0_vgpr1
                                        ; implicit-def: $vgpr4_vgpr5
                                        ; implicit-def: $vgpr56_vgpr57
                                        ; implicit-def: $vgpr48_vgpr49
                                        ; implicit-def: $vgpr16_vgpr17
                                        ; implicit-def: $vgpr12_vgpr13
                                        ; implicit-def: $vgpr60_vgpr61
                                        ; implicit-def: $vgpr64_vgpr65
	s_and_saveexec_b32 s0, vcc_lo
	s_cbranch_execz .LBB0_5
; %bb.4:
	ds_load_b128 v[8:11], v200 offset:816
	ds_load_b128 v[20:23], v200 offset:2112
	;; [unrolled: 1-line block ×17, first 2 shown]
.LBB0_5:
	s_or_b32 exec_lo, exec_lo, s0
	s_waitcnt lgkmcnt(0)
	v_add_f64 v[136:137], v[68:69], v[72:73]
	v_add_f64 v[138:139], v[70:71], v[74:75]
	v_add_f64 v[142:143], v[134:135], -v[130:131]
	v_add_f64 v[140:141], v[132:133], -v[128:129]
	;; [unrolled: 1-line block ×6, first 2 shown]
	v_add_f64 v[144:145], v[100:101], v[108:109]
	v_add_f64 v[146:147], v[102:103], v[110:111]
	v_add_f64 v[168:169], v[100:101], -v[108:109]
	v_add_f64 v[170:171], v[102:103], -v[110:111]
	v_add_f64 v[148:149], v[92:93], v[104:105]
	v_add_f64 v[150:151], v[94:95], v[106:107]
	v_add_f64 v[172:173], v[92:93], -v[104:105]
	v_add_f64 v[174:175], v[94:95], -v[106:107]
	;; [unrolled: 4-line block ×4, first 2 shown]
	s_mov_b32 s36, 0x5d8e7cdc
	s_mov_b32 s38, 0x2a9d6da3
	;; [unrolled: 1-line block ×14, first 2 shown]
	v_add_f64 v[136:137], v[136:137], v[76:77]
	v_add_f64 v[138:139], v[138:139], v[78:79]
	s_mov_b32 s35, 0xbfe0d888
	s_mov_b32 s43, 0xbfc7851a
	;; [unrolled: 1-line block ×34, first 2 shown]
	v_add_f64 v[236:237], v[24:25], -v[60:61]
	v_add_f64 v[244:245], v[28:29], -v[12:13]
	v_add_f64 v[136:137], v[136:137], v[84:85]
	v_add_f64 v[138:139], v[138:139], v[86:87]
	v_add_f64 v[248:249], v[32:33], -v[16:17]
	v_add_f64 v[254:255], v[36:37], -v[48:49]
	v_add_f64 v[238:239], v[54:55], v[2:3]
	scratch_store_b128 off, v[60:63], off offset:444 ; 16-byte Folded Spill
	v_mul_f64 v[250:251], v[236:237], s[46:47]
	v_add_f64 v[136:137], v[136:137], v[92:93]
	v_add_f64 v[138:139], v[138:139], v[94:95]
	v_mul_f64 v[228:229], v[248:249], s[34:35]
	v_mul_f64 v[234:235], v[254:255], s[52:53]
	s_delay_alu instid0(VALU_DEP_4) | instskip(NEXT) | instid1(VALU_DEP_4)
	v_add_f64 v[136:137], v[136:137], v[100:101]
	v_add_f64 v[138:139], v[138:139], v[102:103]
	s_delay_alu instid0(VALU_DEP_2) | instskip(NEXT) | instid1(VALU_DEP_2)
	v_add_f64 v[136:137], v[136:137], v[112:113]
	v_add_f64 v[138:139], v[138:139], v[114:115]
	s_delay_alu instid0(VALU_DEP_2) | instskip(NEXT) | instid1(VALU_DEP_2)
	;; [unrolled: 3-line block ×3, first 2 shown]
	v_add_f64 v[136:137], v[136:137], v[132:133]
	v_add_f64 v[138:139], v[138:139], v[134:135]
	v_add_f64 v[132:133], v[132:133], v[128:129]
	v_add_f64 v[134:135], v[134:135], v[130:131]
	s_delay_alu instid0(VALU_DEP_4) | instskip(NEXT) | instid1(VALU_DEP_4)
	v_add_f64 v[136:137], v[136:137], v[128:129]
	v_add_f64 v[138:139], v[138:139], v[130:131]
	v_add_f64 v[128:129], v[120:121], v[124:125]
	v_add_f64 v[130:131], v[122:123], v[126:127]
	s_delay_alu instid0(VALU_DEP_4) | instskip(NEXT) | instid1(VALU_DEP_4)
	;; [unrolled: 5-line block ×3, first 2 shown]
	v_add_f64 v[112:113], v[120:121], v[116:117]
	v_add_f64 v[114:115], v[122:123], v[118:119]
	s_delay_alu instid0(VALU_DEP_2) | instskip(NEXT) | instid1(VALU_DEP_2)
	v_add_f64 v[100:101], v[112:113], v[108:109]
	v_add_f64 v[102:103], v[114:115], v[110:111]
	s_delay_alu instid0(VALU_DEP_2) | instskip(NEXT) | instid1(VALU_DEP_2)
	;; [unrolled: 3-line block ×4, first 2 shown]
	v_add_f64 v[76:77], v[84:85], v[88:89]
	v_add_f64 v[78:79], v[86:87], v[90:91]
	v_add_f64 v[84:85], v[74:75], -v[82:83]
	v_add_f64 v[90:91], v[72:73], -v[80:81]
	v_add_f64 v[86:87], v[72:73], v[80:81]
	v_add_f64 v[88:89], v[74:75], v[82:83]
	;; [unrolled: 1-line block ×4, first 2 shown]
	v_mul_f64 v[76:77], v[84:85], s[36:37]
	v_mul_f64 v[78:79], v[84:85], s[38:39]
	;; [unrolled: 1-line block ×14, first 2 shown]
	v_fma_f64 v[98:99], v[86:87], s[14:15], -v[76:77]
	v_fma_f64 v[76:77], v[86:87], s[14:15], v[76:77]
	v_fma_f64 v[100:101], v[86:87], s[18:19], -v[78:79]
	v_fma_f64 v[78:79], v[86:87], s[18:19], v[78:79]
	v_fma_f64 v[102:103], v[86:87], s[24:25], -v[80:81]
	v_fma_f64 v[80:81], v[86:87], s[24:25], v[80:81]
	v_fma_f64 v[104:105], v[86:87], s[0:1], -v[82:83]
	v_fma_f64 v[82:83], v[86:87], s[0:1], v[82:83]
	v_fma_f64 v[106:107], v[86:87], s[28:29], -v[92:93]
	v_fma_f64 v[92:93], v[86:87], s[28:29], v[92:93]
	v_fma_f64 v[112:113], v[86:87], s[22:23], -v[94:95]
	v_fma_f64 v[94:95], v[86:87], s[22:23], v[94:95]
	v_fma_f64 v[120:121], v[86:87], s[16:17], -v[96:97]
	v_fma_f64 v[96:97], v[86:87], s[16:17], v[96:97]
	v_fma_f64 v[184:185], v[86:87], s[8:9], -v[84:85]
	v_fma_f64 v[84:85], v[86:87], s[8:9], v[84:85]
	v_mul_f64 v[86:87], v[90:91], s[36:37]
	v_mul_f64 v[90:91], v[90:91], s[42:43]
	v_fma_f64 v[126:127], v[88:89], s[18:19], v[108:109]
	v_fma_f64 v[108:109], v[88:89], s[18:19], -v[108:109]
	v_fma_f64 v[186:187], v[88:89], s[24:25], v[110:111]
	v_fma_f64 v[110:111], v[88:89], s[24:25], -v[110:111]
	;; [unrolled: 2-line block ×6, first 2 shown]
	v_add_f64 v[203:204], v[68:69], v[76:77]
	v_add_f64 v[205:206], v[68:69], v[100:101]
	;; [unrolled: 1-line block ×7, first 2 shown]
	v_mul_f64 v[80:81], v[180:181], s[38:39]
	v_mul_f64 v[82:83], v[178:179], s[40:41]
	v_add_f64 v[118:119], v[68:69], v[94:95]
	v_add_f64 v[122:123], v[68:69], v[120:121]
	v_mul_f64 v[94:95], v[168:169], s[26:27]
	v_fma_f64 v[124:125], v[88:89], s[14:15], v[86:87]
	v_fma_f64 v[86:87], v[88:89], s[14:15], -v[86:87]
	v_fma_f64 v[201:202], v[88:89], s[8:9], v[90:91]
	v_fma_f64 v[88:89], v[88:89], s[8:9], -v[90:91]
	v_add_f64 v[90:91], v[68:69], v[98:99]
	v_add_f64 v[207:208], v[70:71], v[126:127]
	;; [unrolled: 1-line block ×12, first 2 shown]
	v_mul_f64 v[68:69], v[182:183], s[38:39]
	v_add_f64 v[215:216], v[70:71], v[186:187]
	v_add_f64 v[223:224], v[70:71], v[188:189]
	;; [unrolled: 1-line block ×6, first 2 shown]
	v_mul_f64 v[84:85], v[176:177], s[40:41]
	v_mul_f64 v[92:93], v[170:171], s[26:27]
	;; [unrolled: 1-line block ×6, first 2 shown]
	v_fma_f64 v[76:77], v[162:163], s[18:19], v[80:81]
	v_fma_f64 v[78:79], v[152:153], s[24:25], -v[82:83]
	v_fma_f64 v[80:81], v[162:163], s[18:19], -v[80:81]
	v_fma_f64 v[82:83], v[152:153], s[24:25], v[82:83]
	v_add_f64 v[98:99], v[70:71], v[124:125]
	v_add_f64 v[86:87], v[70:71], v[86:87]
	;; [unrolled: 1-line block ×5, first 2 shown]
	v_mul_f64 v[88:89], v[174:175], s[20:21]
	v_mul_f64 v[201:202], v[156:157], s[46:47]
	v_fma_f64 v[70:71], v[160:161], s[18:19], -v[68:69]
	v_fma_f64 v[68:69], v[160:161], s[18:19], v[68:69]
	v_add_f64 v[76:77], v[76:77], v[98:99]
	v_add_f64 v[80:81], v[80:81], v[86:87]
	v_mul_f64 v[98:99], v[164:165], s[30:31]
	v_add_f64 v[70:71], v[70:71], v[90:91]
	v_mul_f64 v[90:91], v[172:173], s[20:21]
	;; [unrolled: 2-line block ×3, first 2 shown]
	s_delay_alu instid0(VALU_DEP_4) | instskip(SKIP_1) | instid1(VALU_DEP_4)
	v_add_f64 v[70:71], v[78:79], v[70:71]
	v_fma_f64 v[78:79], v[154:155], s[24:25], v[84:85]
	v_add_f64 v[68:69], v[82:83], v[68:69]
	v_fma_f64 v[82:83], v[154:155], s[24:25], -v[84:85]
	s_delay_alu instid0(VALU_DEP_3) | instskip(SKIP_1) | instid1(VALU_DEP_3)
	v_add_f64 v[76:77], v[78:79], v[76:77]
	v_fma_f64 v[78:79], v[148:149], s[0:1], -v[88:89]
	v_add_f64 v[80:81], v[82:83], v[80:81]
	v_fma_f64 v[82:83], v[148:149], s[0:1], v[88:89]
	v_mul_f64 v[88:89], v[180:181], s[20:21]
	s_delay_alu instid0(VALU_DEP_4) | instskip(SKIP_1) | instid1(VALU_DEP_4)
	v_add_f64 v[70:71], v[78:79], v[70:71]
	v_fma_f64 v[78:79], v[150:151], s[0:1], v[90:91]
	v_add_f64 v[68:69], v[82:83], v[68:69]
	v_fma_f64 v[82:83], v[150:151], s[0:1], -v[90:91]
	v_mul_f64 v[90:91], v[178:179], s[30:31]
	v_fma_f64 v[84:85], v[162:163], s[0:1], v[88:89]
	v_fma_f64 v[88:89], v[162:163], s[0:1], -v[88:89]
	v_add_f64 v[76:77], v[78:79], v[76:77]
	v_fma_f64 v[78:79], v[144:145], s[28:29], -v[92:93]
	v_add_f64 v[80:81], v[82:83], v[80:81]
	v_fma_f64 v[82:83], v[144:145], s[28:29], v[92:93]
	v_fma_f64 v[86:87], v[152:153], s[22:23], -v[90:91]
	v_mul_f64 v[92:93], v[176:177], s[30:31]
	v_add_f64 v[84:85], v[84:85], v[207:208]
	v_fma_f64 v[90:91], v[152:153], s[22:23], v[90:91]
	v_add_f64 v[88:89], v[88:89], v[211:212]
	v_mul_f64 v[207:208], v[158:159], s[20:21]
	v_mul_f64 v[211:212], v[142:143], s[34:35]
	v_add_f64 v[70:71], v[78:79], v[70:71]
	v_fma_f64 v[78:79], v[146:147], s[28:29], v[94:95]
	v_add_f64 v[68:69], v[82:83], v[68:69]
	v_fma_f64 v[82:83], v[146:147], s[28:29], -v[94:95]
	v_mul_f64 v[94:95], v[174:175], s[42:43]
	s_delay_alu instid0(VALU_DEP_4) | instskip(SKIP_1) | instid1(VALU_DEP_4)
	v_add_f64 v[76:77], v[78:79], v[76:77]
	v_fma_f64 v[78:79], v[136:137], s[22:23], -v[96:97]
	v_add_f64 v[80:81], v[82:83], v[80:81]
	v_fma_f64 v[82:83], v[136:137], s[22:23], v[96:97]
	v_mul_f64 v[96:97], v[172:173], s[42:43]
	s_delay_alu instid0(VALU_DEP_4) | instskip(SKIP_1) | instid1(VALU_DEP_4)
	v_add_f64 v[70:71], v[78:79], v[70:71]
	v_fma_f64 v[78:79], v[138:139], s[22:23], v[98:99]
	v_add_f64 v[68:69], v[82:83], v[68:69]
	v_fma_f64 v[82:83], v[138:139], s[22:23], -v[98:99]
	v_mul_f64 v[98:99], v[170:171], s[54:55]
	s_delay_alu instid0(VALU_DEP_4) | instskip(SKIP_1) | instid1(VALU_DEP_4)
	v_add_f64 v[76:77], v[78:79], v[76:77]
	v_fma_f64 v[78:79], v[128:129], s[16:17], -v[192:193]
	v_add_f64 v[80:81], v[82:83], v[80:81]
	v_fma_f64 v[82:83], v[128:129], s[16:17], v[192:193]
	v_mul_f64 v[192:193], v[168:169], s[54:55]
	s_delay_alu instid0(VALU_DEP_4) | instskip(SKIP_1) | instid1(VALU_DEP_4)
	;; [unrolled: 12-line block ×3, first 2 shown]
	v_add_f64 v[76:77], v[76:77], v[70:71]
	v_mul_f64 v[70:71], v[140:141], s[42:43]
	v_add_f64 v[68:69], v[82:83], v[68:69]
	s_delay_alu instid0(VALU_DEP_2) | instskip(SKIP_1) | instid1(VALU_DEP_2)
	v_fma_f64 v[198:199], v[134:135], s[8:9], v[70:71]
	v_fma_f64 v[70:71], v[134:135], s[8:9], -v[70:71]
	v_add_f64 v[78:79], v[198:199], v[78:79]
	s_delay_alu instid0(VALU_DEP_2) | instskip(SKIP_2) | instid1(VALU_DEP_2)
	v_add_f64 v[70:71], v[70:71], v[80:81]
	v_mul_f64 v[80:81], v[182:183], s[20:21]
	v_mul_f64 v[198:199], v[158:159], s[46:47]
	v_fma_f64 v[82:83], v[160:161], s[0:1], -v[80:81]
	v_fma_f64 v[80:81], v[160:161], s[0:1], v[80:81]
	s_delay_alu instid0(VALU_DEP_2) | instskip(NEXT) | instid1(VALU_DEP_2)
	v_add_f64 v[82:83], v[82:83], v[205:206]
	v_add_f64 v[80:81], v[80:81], v[209:210]
	v_mul_f64 v[209:210], v[156:157], s[20:21]
	s_delay_alu instid0(VALU_DEP_3) | instskip(SKIP_1) | instid1(VALU_DEP_4)
	v_add_f64 v[82:83], v[86:87], v[82:83]
	v_fma_f64 v[86:87], v[154:155], s[22:23], v[92:93]
	v_add_f64 v[80:81], v[90:91], v[80:81]
	v_fma_f64 v[90:91], v[154:155], s[22:23], -v[92:93]
	s_delay_alu instid0(VALU_DEP_3) | instskip(SKIP_1) | instid1(VALU_DEP_3)
	v_add_f64 v[84:85], v[86:87], v[84:85]
	v_fma_f64 v[86:87], v[148:149], s[8:9], -v[94:95]
	v_add_f64 v[88:89], v[90:91], v[88:89]
	v_fma_f64 v[90:91], v[148:149], s[8:9], v[94:95]
	s_delay_alu instid0(VALU_DEP_3) | instskip(SKIP_1) | instid1(VALU_DEP_3)
	v_add_f64 v[82:83], v[86:87], v[82:83]
	v_fma_f64 v[86:87], v[150:151], s[8:9], v[96:97]
	v_add_f64 v[80:81], v[90:91], v[80:81]
	v_fma_f64 v[90:91], v[150:151], s[8:9], -v[96:97]
	v_mul_f64 v[96:97], v[180:181], s[30:31]
	s_delay_alu instid0(VALU_DEP_4) | instskip(SKIP_1) | instid1(VALU_DEP_4)
	v_add_f64 v[84:85], v[86:87], v[84:85]
	v_fma_f64 v[86:87], v[144:145], s[16:17], -v[98:99]
	v_add_f64 v[88:89], v[90:91], v[88:89]
	v_fma_f64 v[90:91], v[144:145], s[16:17], v[98:99]
	v_mul_f64 v[98:99], v[178:179], s[56:57]
	v_fma_f64 v[92:93], v[162:163], s[22:23], v[96:97]
	v_fma_f64 v[96:97], v[162:163], s[22:23], -v[96:97]
	v_add_f64 v[82:83], v[86:87], v[82:83]
	v_fma_f64 v[86:87], v[146:147], s[16:17], v[192:193]
	v_add_f64 v[80:81], v[90:91], v[80:81]
	v_fma_f64 v[90:91], v[146:147], s[16:17], -v[192:193]
	v_fma_f64 v[94:95], v[152:153], s[8:9], -v[98:99]
	v_mul_f64 v[192:193], v[176:177], s[56:57]
	v_add_f64 v[92:93], v[92:93], v[215:216]
	v_fma_f64 v[98:99], v[152:153], s[8:9], v[98:99]
	v_add_f64 v[96:97], v[96:97], v[219:220]
	v_add_f64 v[84:85], v[86:87], v[84:85]
	v_fma_f64 v[86:87], v[136:137], s[28:29], -v[194:195]
	v_add_f64 v[88:89], v[90:91], v[88:89]
	v_fma_f64 v[90:91], v[136:137], s[28:29], v[194:195]
	v_mul_f64 v[194:195], v[174:175], s[44:45]
	s_delay_alu instid0(VALU_DEP_4) | instskip(SKIP_1) | instid1(VALU_DEP_4)
	v_add_f64 v[82:83], v[86:87], v[82:83]
	v_fma_f64 v[86:87], v[138:139], s[28:29], v[196:197]
	v_add_f64 v[80:81], v[90:91], v[80:81]
	v_fma_f64 v[90:91], v[138:139], s[28:29], -v[196:197]
	v_mul_f64 v[196:197], v[172:173], s[44:45]
	s_delay_alu instid0(VALU_DEP_4) | instskip(SKIP_1) | instid1(VALU_DEP_4)
	v_add_f64 v[84:85], v[86:87], v[84:85]
	v_fma_f64 v[86:87], v[128:129], s[24:25], -v[198:199]
	v_add_f64 v[88:89], v[90:91], v[88:89]
	v_fma_f64 v[90:91], v[128:129], s[24:25], v[198:199]
	v_mul_f64 v[198:199], v[170:171], s[50:51]
	s_delay_alu instid0(VALU_DEP_4) | instskip(SKIP_1) | instid1(VALU_DEP_4)
	v_add_f64 v[82:83], v[86:87], v[82:83]
	v_fma_f64 v[86:87], v[130:131], s[24:25], v[201:202]
	v_add_f64 v[80:81], v[90:91], v[80:81]
	v_fma_f64 v[90:91], v[130:131], s[24:25], -v[201:202]
	v_mul_f64 v[201:202], v[168:169], s[50:51]
	s_delay_alu instid0(VALU_DEP_4) | instskip(SKIP_1) | instid1(VALU_DEP_4)
	v_add_f64 v[86:87], v[86:87], v[84:85]
	v_fma_f64 v[84:85], v[132:133], s[14:15], -v[203:204]
	v_add_f64 v[88:89], v[90:91], v[88:89]
	v_fma_f64 v[90:91], v[132:133], s[14:15], v[203:204]
	v_mul_f64 v[203:204], v[166:167], s[36:37]
	s_delay_alu instid0(VALU_DEP_4) | instskip(SKIP_1) | instid1(VALU_DEP_4)
	v_add_f64 v[84:85], v[84:85], v[82:83]
	v_mul_f64 v[82:83], v[140:141], s[48:49]
	v_add_f64 v[80:81], v[90:91], v[80:81]
	s_delay_alu instid0(VALU_DEP_2) | instskip(SKIP_1) | instid1(VALU_DEP_2)
	v_fma_f64 v[205:206], v[134:135], s[14:15], v[82:83]
	v_fma_f64 v[82:83], v[134:135], s[14:15], -v[82:83]
	v_add_f64 v[86:87], v[205:206], v[86:87]
	s_delay_alu instid0(VALU_DEP_2) | instskip(SKIP_2) | instid1(VALU_DEP_2)
	v_add_f64 v[82:83], v[82:83], v[88:89]
	v_mul_f64 v[88:89], v[182:183], s[30:31]
	v_mul_f64 v[205:206], v[164:165], s[36:37]
	v_fma_f64 v[90:91], v[160:161], s[22:23], -v[88:89]
	v_fma_f64 v[88:89], v[160:161], s[22:23], v[88:89]
	s_delay_alu instid0(VALU_DEP_2) | instskip(NEXT) | instid1(VALU_DEP_2)
	v_add_f64 v[90:91], v[90:91], v[213:214]
	v_add_f64 v[88:89], v[88:89], v[217:218]
	s_delay_alu instid0(VALU_DEP_2) | instskip(SKIP_1) | instid1(VALU_DEP_3)
	v_add_f64 v[90:91], v[94:95], v[90:91]
	v_fma_f64 v[94:95], v[154:155], s[8:9], v[192:193]
	v_add_f64 v[88:89], v[98:99], v[88:89]
	v_fma_f64 v[98:99], v[154:155], s[8:9], -v[192:193]
	v_mul_f64 v[192:193], v[182:183], s[42:43]
	s_delay_alu instid0(VALU_DEP_4) | instskip(SKIP_1) | instid1(VALU_DEP_4)
	v_add_f64 v[92:93], v[94:95], v[92:93]
	v_fma_f64 v[94:95], v[148:149], s[28:29], -v[194:195]
	v_add_f64 v[96:97], v[98:99], v[96:97]
	v_fma_f64 v[98:99], v[148:149], s[28:29], v[194:195]
	v_mul_f64 v[194:195], v[180:181], s[42:43]
	s_delay_alu instid0(VALU_DEP_4) | instskip(SKIP_1) | instid1(VALU_DEP_4)
	v_add_f64 v[90:91], v[94:95], v[90:91]
	v_fma_f64 v[94:95], v[150:151], s[28:29], v[196:197]
	v_add_f64 v[88:89], v[98:99], v[88:89]
	v_fma_f64 v[98:99], v[150:151], s[28:29], -v[196:197]
	v_mul_f64 v[196:197], v[178:179], s[44:45]
	s_delay_alu instid0(VALU_DEP_4) | instskip(SKIP_1) | instid1(VALU_DEP_4)
	v_add_f64 v[92:93], v[94:95], v[92:93]
	v_fma_f64 v[94:95], v[144:145], s[18:19], -v[198:199]
	v_add_f64 v[96:97], v[98:99], v[96:97]
	v_fma_f64 v[98:99], v[144:145], s[18:19], v[198:199]
	v_fma_f64 v[198:199], v[152:153], s[28:29], -v[196:197]
	s_delay_alu instid0(VALU_DEP_4) | instskip(SKIP_1) | instid1(VALU_DEP_4)
	v_add_f64 v[90:91], v[94:95], v[90:91]
	v_fma_f64 v[94:95], v[146:147], s[18:19], v[201:202]
	v_add_f64 v[88:89], v[98:99], v[88:89]
	v_fma_f64 v[98:99], v[146:147], s[18:19], -v[201:202]
	s_delay_alu instid0(VALU_DEP_3) | instskip(SKIP_1) | instid1(VALU_DEP_3)
	v_add_f64 v[92:93], v[94:95], v[92:93]
	v_fma_f64 v[94:95], v[136:137], s[14:15], -v[203:204]
	v_add_f64 v[96:97], v[98:99], v[96:97]
	v_fma_f64 v[98:99], v[136:137], s[14:15], v[203:204]
	s_delay_alu instid0(VALU_DEP_3) | instskip(SKIP_1) | instid1(VALU_DEP_3)
	v_add_f64 v[90:91], v[94:95], v[90:91]
	v_fma_f64 v[94:95], v[138:139], s[14:15], v[205:206]
	v_add_f64 v[88:89], v[98:99], v[88:89]
	v_fma_f64 v[98:99], v[138:139], s[14:15], -v[205:206]
	s_delay_alu instid0(VALU_DEP_3) | instskip(SKIP_1) | instid1(VALU_DEP_3)
	v_add_f64 v[92:93], v[94:95], v[92:93]
	v_fma_f64 v[94:95], v[128:129], s[0:1], -v[207:208]
	v_add_f64 v[96:97], v[98:99], v[96:97]
	v_fma_f64 v[98:99], v[128:129], s[0:1], v[207:208]
	s_delay_alu instid0(VALU_DEP_3) | instskip(SKIP_1) | instid1(VALU_DEP_3)
	;; [unrolled: 10-line block ×3, first 2 shown]
	v_add_f64 v[92:93], v[92:93], v[90:91]
	v_mul_f64 v[90:91], v[140:141], s[34:35]
	v_add_f64 v[88:89], v[98:99], v[88:89]
	v_fma_f64 v[98:99], v[162:163], s[8:9], v[194:195]
	s_delay_alu instid0(VALU_DEP_3) | instskip(SKIP_1) | instid1(VALU_DEP_3)
	v_fma_f64 v[213:214], v[134:135], s[16:17], v[90:91]
	v_fma_f64 v[90:91], v[134:135], s[16:17], -v[90:91]
	v_add_f64 v[98:99], v[98:99], v[223:224]
	s_delay_alu instid0(VALU_DEP_3) | instskip(NEXT) | instid1(VALU_DEP_3)
	v_add_f64 v[94:95], v[213:214], v[94:95]
	v_add_f64 v[90:91], v[90:91], v[96:97]
	v_fma_f64 v[96:97], v[160:161], s[8:9], -v[192:193]
	v_fma_f64 v[192:193], v[160:161], s[8:9], v[192:193]
	s_delay_alu instid0(VALU_DEP_2) | instskip(NEXT) | instid1(VALU_DEP_2)
	v_add_f64 v[96:97], v[96:97], v[221:222]
	v_add_f64 v[102:103], v[192:193], v[102:103]
	v_fma_f64 v[192:193], v[162:163], s[8:9], -v[194:195]
	s_delay_alu instid0(VALU_DEP_3) | instskip(SKIP_1) | instid1(VALU_DEP_3)
	v_add_f64 v[96:97], v[198:199], v[96:97]
	v_mul_f64 v[198:199], v[176:177], s[44:45]
	v_add_f64 v[100:101], v[192:193], v[100:101]
	v_fma_f64 v[192:193], v[152:153], s[28:29], v[196:197]
	s_delay_alu instid0(VALU_DEP_3) | instskip(NEXT) | instid1(VALU_DEP_2)
	v_fma_f64 v[201:202], v[154:155], s[28:29], v[198:199]
	v_add_f64 v[102:103], v[192:193], v[102:103]
	v_fma_f64 v[192:193], v[154:155], s[28:29], -v[198:199]
	s_delay_alu instid0(VALU_DEP_3) | instskip(SKIP_1) | instid1(VALU_DEP_3)
	v_add_f64 v[98:99], v[201:202], v[98:99]
	v_mul_f64 v[201:202], v[174:175], s[48:49]
	v_add_f64 v[100:101], v[192:193], v[100:101]
	s_delay_alu instid0(VALU_DEP_2) | instskip(SKIP_1) | instid1(VALU_DEP_2)
	v_fma_f64 v[203:204], v[148:149], s[14:15], -v[201:202]
	v_fma_f64 v[192:193], v[148:149], s[14:15], v[201:202]
	v_add_f64 v[96:97], v[203:204], v[96:97]
	v_mul_f64 v[203:204], v[172:173], s[48:49]
	s_delay_alu instid0(VALU_DEP_3) | instskip(NEXT) | instid1(VALU_DEP_2)
	v_add_f64 v[102:103], v[192:193], v[102:103]
	v_fma_f64 v[205:206], v[150:151], s[14:15], v[203:204]
	v_fma_f64 v[192:193], v[150:151], s[14:15], -v[203:204]
	s_delay_alu instid0(VALU_DEP_2) | instskip(SKIP_1) | instid1(VALU_DEP_3)
	v_add_f64 v[98:99], v[205:206], v[98:99]
	v_mul_f64 v[205:206], v[170:171], s[40:41]
	v_add_f64 v[100:101], v[192:193], v[100:101]
	s_delay_alu instid0(VALU_DEP_2) | instskip(SKIP_1) | instid1(VALU_DEP_2)
	v_fma_f64 v[207:208], v[144:145], s[24:25], -v[205:206]
	v_fma_f64 v[192:193], v[144:145], s[24:25], v[205:206]
	v_add_f64 v[96:97], v[207:208], v[96:97]
	v_mul_f64 v[207:208], v[168:169], s[40:41]
	s_delay_alu instid0(VALU_DEP_3) | instskip(NEXT) | instid1(VALU_DEP_2)
	v_add_f64 v[102:103], v[192:193], v[102:103]
	v_fma_f64 v[209:210], v[146:147], s[24:25], v[207:208]
	v_fma_f64 v[192:193], v[146:147], s[24:25], -v[207:208]
	s_delay_alu instid0(VALU_DEP_2) | instskip(SKIP_1) | instid1(VALU_DEP_3)
	;; [unrolled: 13-line block ×4, first 2 shown]
	v_add_f64 v[98:99], v[217:218], v[98:99]
	v_mul_f64 v[217:218], v[142:143], s[50:51]
	v_add_f64 v[192:193], v[192:193], v[100:101]
	s_delay_alu instid0(VALU_DEP_2) | instskip(SKIP_1) | instid1(VALU_DEP_2)
	v_fma_f64 v[219:220], v[132:133], s[18:19], -v[217:218]
	v_fma_f64 v[100:101], v[132:133], s[18:19], v[217:218]
	v_add_f64 v[96:97], v[219:220], v[96:97]
	v_mul_f64 v[219:220], v[140:141], s[50:51]
	s_delay_alu instid0(VALU_DEP_3) | instskip(NEXT) | instid1(VALU_DEP_2)
	v_add_f64 v[100:101], v[100:101], v[102:103]
	v_fma_f64 v[194:195], v[134:135], s[18:19], -v[219:220]
	v_fma_f64 v[221:222], v[134:135], s[18:19], v[219:220]
	v_mul_f64 v[219:220], v[142:143], s[30:31]
	s_delay_alu instid0(VALU_DEP_3) | instskip(SKIP_1) | instid1(VALU_DEP_4)
	v_add_f64 v[102:103], v[194:195], v[192:193]
	v_mul_f64 v[192:193], v[182:183], s[54:55]
	v_add_f64 v[98:99], v[221:222], v[98:99]
	v_mul_f64 v[221:222], v[140:141], s[30:31]
	s_delay_alu instid0(VALU_DEP_3) | instskip(SKIP_1) | instid1(VALU_DEP_2)
	v_fma_f64 v[194:195], v[160:161], s[16:17], -v[192:193]
	v_fma_f64 v[192:193], v[160:161], s[16:17], v[192:193]
	v_add_f64 v[110:111], v[194:195], v[110:111]
	v_mul_f64 v[194:195], v[180:181], s[54:55]
	s_delay_alu instid0(VALU_DEP_3) | instskip(NEXT) | instid1(VALU_DEP_2)
	v_add_f64 v[106:107], v[192:193], v[106:107]
	v_fma_f64 v[196:197], v[162:163], s[16:17], v[194:195]
	v_fma_f64 v[192:193], v[162:163], s[16:17], -v[194:195]
	v_fma_f64 v[194:195], v[134:135], s[22:23], -v[221:222]
	s_delay_alu instid0(VALU_DEP_3) | instskip(SKIP_1) | instid1(VALU_DEP_4)
	v_add_f64 v[108:109], v[196:197], v[108:109]
	v_mul_f64 v[196:197], v[178:179], s[50:51]
	v_add_f64 v[104:105], v[192:193], v[104:105]
	s_delay_alu instid0(VALU_DEP_2) | instskip(SKIP_1) | instid1(VALU_DEP_2)
	v_fma_f64 v[198:199], v[152:153], s[18:19], -v[196:197]
	v_fma_f64 v[192:193], v[152:153], s[18:19], v[196:197]
	v_add_f64 v[110:111], v[198:199], v[110:111]
	v_mul_f64 v[198:199], v[176:177], s[50:51]
	s_delay_alu instid0(VALU_DEP_3) | instskip(NEXT) | instid1(VALU_DEP_2)
	v_add_f64 v[106:107], v[192:193], v[106:107]
	v_fma_f64 v[201:202], v[154:155], s[18:19], v[198:199]
	v_fma_f64 v[192:193], v[154:155], s[18:19], -v[198:199]
	s_delay_alu instid0(VALU_DEP_2) | instskip(SKIP_1) | instid1(VALU_DEP_3)
	v_add_f64 v[108:109], v[201:202], v[108:109]
	v_mul_f64 v[201:202], v[174:175], s[40:41]
	v_add_f64 v[104:105], v[192:193], v[104:105]
	s_delay_alu instid0(VALU_DEP_2) | instskip(SKIP_1) | instid1(VALU_DEP_2)
	v_fma_f64 v[203:204], v[148:149], s[24:25], -v[201:202]
	v_fma_f64 v[192:193], v[148:149], s[24:25], v[201:202]
	v_add_f64 v[110:111], v[203:204], v[110:111]
	v_mul_f64 v[203:204], v[172:173], s[40:41]
	s_delay_alu instid0(VALU_DEP_3) | instskip(NEXT) | instid1(VALU_DEP_2)
	v_add_f64 v[106:107], v[192:193], v[106:107]
	v_fma_f64 v[205:206], v[150:151], s[24:25], v[203:204]
	v_fma_f64 v[192:193], v[150:151], s[24:25], -v[203:204]
	s_delay_alu instid0(VALU_DEP_2) | instskip(SKIP_1) | instid1(VALU_DEP_3)
	v_add_f64 v[108:109], v[205:206], v[108:109]
	v_mul_f64 v[205:206], v[170:171], s[42:43]
	v_add_f64 v[104:105], v[192:193], v[104:105]
	s_delay_alu instid0(VALU_DEP_2) | instskip(SKIP_1) | instid1(VALU_DEP_2)
	v_fma_f64 v[207:208], v[144:145], s[8:9], -v[205:206]
	v_fma_f64 v[192:193], v[144:145], s[8:9], v[205:206]
	v_add_f64 v[110:111], v[207:208], v[110:111]
	v_mul_f64 v[207:208], v[168:169], s[42:43]
	s_delay_alu instid0(VALU_DEP_3) | instskip(NEXT) | instid1(VALU_DEP_2)
	v_add_f64 v[106:107], v[192:193], v[106:107]
	v_fma_f64 v[209:210], v[146:147], s[8:9], v[207:208]
	v_fma_f64 v[192:193], v[146:147], s[8:9], -v[207:208]
	s_delay_alu instid0(VALU_DEP_2) | instskip(SKIP_1) | instid1(VALU_DEP_3)
	v_add_f64 v[108:109], v[209:210], v[108:109]
	v_mul_f64 v[209:210], v[166:167], s[52:53]
	v_add_f64 v[104:105], v[192:193], v[104:105]
	s_delay_alu instid0(VALU_DEP_2) | instskip(SKIP_1) | instid1(VALU_DEP_2)
	v_fma_f64 v[211:212], v[136:137], s[0:1], -v[209:210]
	v_fma_f64 v[192:193], v[136:137], s[0:1], v[209:210]
	v_add_f64 v[110:111], v[211:212], v[110:111]
	v_mul_f64 v[211:212], v[164:165], s[52:53]
	s_delay_alu instid0(VALU_DEP_3) | instskip(NEXT) | instid1(VALU_DEP_2)
	v_add_f64 v[106:107], v[192:193], v[106:107]
	v_fma_f64 v[213:214], v[138:139], s[0:1], v[211:212]
	v_fma_f64 v[192:193], v[138:139], s[0:1], -v[211:212]
	s_delay_alu instid0(VALU_DEP_2) | instskip(SKIP_1) | instid1(VALU_DEP_3)
	v_add_f64 v[108:109], v[213:214], v[108:109]
	v_mul_f64 v[213:214], v[158:159], s[36:37]
	v_add_f64 v[104:105], v[192:193], v[104:105]
	s_delay_alu instid0(VALU_DEP_2) | instskip(SKIP_1) | instid1(VALU_DEP_2)
	v_fma_f64 v[215:216], v[128:129], s[14:15], -v[213:214]
	v_fma_f64 v[192:193], v[128:129], s[14:15], v[213:214]
	v_add_f64 v[110:111], v[215:216], v[110:111]
	v_mul_f64 v[215:216], v[156:157], s[36:37]
	s_delay_alu instid0(VALU_DEP_3) | instskip(NEXT) | instid1(VALU_DEP_2)
	v_add_f64 v[106:107], v[192:193], v[106:107]
	v_fma_f64 v[192:193], v[130:131], s[14:15], -v[215:216]
	v_fma_f64 v[217:218], v[130:131], s[14:15], v[215:216]
	s_delay_alu instid0(VALU_DEP_2) | instskip(SKIP_1) | instid1(VALU_DEP_3)
	v_add_f64 v[192:193], v[192:193], v[104:105]
	v_fma_f64 v[104:105], v[132:133], s[22:23], v[219:220]
	v_add_f64 v[217:218], v[217:218], v[108:109]
	v_fma_f64 v[108:109], v[132:133], s[22:23], -v[219:220]
	v_mul_f64 v[219:220], v[142:143], s[46:47]
	s_delay_alu instid0(VALU_DEP_4)
	v_add_f64 v[104:105], v[104:105], v[106:107]
	v_add_f64 v[106:107], v[194:195], v[192:193]
	v_mul_f64 v[192:193], v[182:183], s[44:45]
	v_add_f64 v[108:109], v[108:109], v[110:111]
	v_fma_f64 v[110:111], v[134:135], s[22:23], v[221:222]
	v_mul_f64 v[221:222], v[140:141], s[46:47]
	s_delay_alu instid0(VALU_DEP_4) | instskip(SKIP_1) | instid1(VALU_DEP_4)
	v_fma_f64 v[194:195], v[160:161], s[28:29], -v[192:193]
	v_fma_f64 v[192:193], v[160:161], s[28:29], v[192:193]
	v_add_f64 v[110:111], v[110:111], v[217:218]
	s_delay_alu instid0(VALU_DEP_3) | instskip(SKIP_1) | instid1(VALU_DEP_4)
	v_add_f64 v[114:115], v[194:195], v[114:115]
	v_mul_f64 v[194:195], v[180:181], s[44:45]
	v_add_f64 v[118:119], v[192:193], v[118:119]
	s_delay_alu instid0(VALU_DEP_2) | instskip(SKIP_2) | instid1(VALU_DEP_3)
	v_fma_f64 v[196:197], v[162:163], s[28:29], v[194:195]
	v_fma_f64 v[192:193], v[162:163], s[28:29], -v[194:195]
	v_fma_f64 v[194:195], v[134:135], s[24:25], -v[221:222]
	v_add_f64 v[112:113], v[196:197], v[112:113]
	v_mul_f64 v[196:197], v[178:179], s[36:37]
	s_delay_alu instid0(VALU_DEP_4) | instskip(NEXT) | instid1(VALU_DEP_2)
	v_add_f64 v[116:117], v[192:193], v[116:117]
	v_fma_f64 v[198:199], v[152:153], s[14:15], -v[196:197]
	v_fma_f64 v[192:193], v[152:153], s[14:15], v[196:197]
	s_delay_alu instid0(VALU_DEP_2) | instskip(SKIP_1) | instid1(VALU_DEP_3)
	v_add_f64 v[114:115], v[198:199], v[114:115]
	v_mul_f64 v[198:199], v[176:177], s[36:37]
	v_add_f64 v[118:119], v[192:193], v[118:119]
	s_delay_alu instid0(VALU_DEP_2) | instskip(SKIP_1) | instid1(VALU_DEP_2)
	v_fma_f64 v[201:202], v[154:155], s[14:15], v[198:199]
	v_fma_f64 v[192:193], v[154:155], s[14:15], -v[198:199]
	v_add_f64 v[112:113], v[201:202], v[112:113]
	v_mul_f64 v[201:202], v[174:175], s[34:35]
	s_delay_alu instid0(VALU_DEP_3) | instskip(NEXT) | instid1(VALU_DEP_2)
	v_add_f64 v[116:117], v[192:193], v[116:117]
	v_fma_f64 v[203:204], v[148:149], s[16:17], -v[201:202]
	v_fma_f64 v[192:193], v[148:149], s[16:17], v[201:202]
	s_delay_alu instid0(VALU_DEP_2) | instskip(SKIP_1) | instid1(VALU_DEP_3)
	v_add_f64 v[114:115], v[203:204], v[114:115]
	v_mul_f64 v[203:204], v[172:173], s[34:35]
	v_add_f64 v[118:119], v[192:193], v[118:119]
	s_delay_alu instid0(VALU_DEP_2) | instskip(SKIP_1) | instid1(VALU_DEP_2)
	v_fma_f64 v[205:206], v[150:151], s[16:17], v[203:204]
	v_fma_f64 v[192:193], v[150:151], s[16:17], -v[203:204]
	v_add_f64 v[112:113], v[205:206], v[112:113]
	v_mul_f64 v[205:206], v[170:171], s[52:53]
	s_delay_alu instid0(VALU_DEP_3) | instskip(NEXT) | instid1(VALU_DEP_2)
	;; [unrolled: 13-line block ×4, first 2 shown]
	v_add_f64 v[116:117], v[192:193], v[116:117]
	v_fma_f64 v[215:216], v[128:129], s[8:9], -v[213:214]
	v_fma_f64 v[192:193], v[128:129], s[8:9], v[213:214]
	s_delay_alu instid0(VALU_DEP_2) | instskip(SKIP_1) | instid1(VALU_DEP_3)
	v_add_f64 v[114:115], v[215:216], v[114:115]
	v_mul_f64 v[215:216], v[156:157], s[42:43]
	v_add_f64 v[118:119], v[192:193], v[118:119]
	s_delay_alu instid0(VALU_DEP_2) | instskip(SKIP_1) | instid1(VALU_DEP_2)
	v_fma_f64 v[192:193], v[130:131], s[8:9], -v[215:216]
	v_fma_f64 v[217:218], v[130:131], s[8:9], v[215:216]
	v_add_f64 v[192:193], v[192:193], v[116:117]
	v_fma_f64 v[116:117], v[132:133], s[24:25], v[219:220]
	s_delay_alu instid0(VALU_DEP_3)
	v_add_f64 v[217:218], v[217:218], v[112:113]
	v_fma_f64 v[112:113], v[132:133], s[24:25], -v[219:220]
	v_mul_f64 v[219:220], v[142:143], s[26:27]
	v_mul_f64 v[142:143], v[142:143], s[52:53]
	v_add_f64 v[116:117], v[116:117], v[118:119]
	v_add_f64 v[118:119], v[194:195], v[192:193]
	v_mul_f64 v[192:193], v[182:183], s[46:47]
	v_add_f64 v[112:113], v[112:113], v[114:115]
	v_fma_f64 v[114:115], v[134:135], s[24:25], v[221:222]
	v_mul_f64 v[221:222], v[140:141], s[26:27]
	v_mul_f64 v[182:183], v[182:183], s[48:49]
	;; [unrolled: 1-line block ×3, first 2 shown]
	v_fma_f64 v[194:195], v[160:161], s[24:25], -v[192:193]
	v_fma_f64 v[192:193], v[160:161], s[24:25], v[192:193]
	v_add_f64 v[114:115], v[114:115], v[217:218]
	s_delay_alu instid0(VALU_DEP_3) | instskip(SKIP_1) | instid1(VALU_DEP_4)
	v_add_f64 v[122:123], v[194:195], v[122:123]
	v_mul_f64 v[194:195], v[180:181], s[46:47]
	v_add_f64 v[126:127], v[192:193], v[126:127]
	v_mul_f64 v[180:181], v[180:181], s[48:49]
	s_delay_alu instid0(VALU_DEP_3) | instskip(SKIP_2) | instid1(VALU_DEP_3)
	v_fma_f64 v[196:197], v[162:163], s[24:25], v[194:195]
	v_fma_f64 v[192:193], v[162:163], s[24:25], -v[194:195]
	v_fma_f64 v[194:195], v[134:135], s[28:29], -v[221:222]
	v_add_f64 v[120:121], v[196:197], v[120:121]
	v_mul_f64 v[196:197], v[178:179], s[20:21]
	s_delay_alu instid0(VALU_DEP_4) | instskip(SKIP_1) | instid1(VALU_DEP_3)
	v_add_f64 v[124:125], v[192:193], v[124:125]
	v_mul_f64 v[178:179], v[178:179], s[34:35]
	v_fma_f64 v[198:199], v[152:153], s[0:1], -v[196:197]
	v_fma_f64 v[192:193], v[152:153], s[0:1], v[196:197]
	v_add_f64 v[196:197], v[42:43], -v[58:59]
	s_delay_alu instid0(VALU_DEP_3) | instskip(SKIP_1) | instid1(VALU_DEP_4)
	v_add_f64 v[122:123], v[198:199], v[122:123]
	v_mul_f64 v[198:199], v[176:177], s[20:21]
	v_add_f64 v[126:127], v[192:193], v[126:127]
	v_mul_f64 v[176:177], v[176:177], s[34:35]
	v_mul_f64 v[232:233], v[196:197], s[38:39]
	s_delay_alu instid0(VALU_DEP_4) | instskip(SKIP_2) | instid1(VALU_DEP_3)
	v_fma_f64 v[201:202], v[154:155], s[0:1], v[198:199]
	v_fma_f64 v[192:193], v[154:155], s[0:1], -v[198:199]
	v_add_f64 v[198:199], v[38:39], v[50:51]
	v_add_f64 v[120:121], v[201:202], v[120:121]
	v_mul_f64 v[201:202], v[174:175], s[58:59]
	s_delay_alu instid0(VALU_DEP_4) | instskip(SKIP_1) | instid1(VALU_DEP_3)
	v_add_f64 v[124:125], v[192:193], v[124:125]
	v_mul_f64 v[174:175], v[174:175], s[50:51]
	v_fma_f64 v[203:204], v[148:149], s[22:23], -v[201:202]
	v_fma_f64 v[192:193], v[148:149], s[22:23], v[201:202]
	s_delay_alu instid0(VALU_DEP_2) | instskip(SKIP_1) | instid1(VALU_DEP_3)
	v_add_f64 v[122:123], v[203:204], v[122:123]
	v_mul_f64 v[203:204], v[172:173], s[58:59]
	v_add_f64 v[126:127], v[192:193], v[126:127]
	v_mul_f64 v[172:173], v[172:173], s[50:51]
	s_delay_alu instid0(VALU_DEP_3) | instskip(SKIP_2) | instid1(VALU_DEP_3)
	v_fma_f64 v[205:206], v[150:151], s[22:23], v[203:204]
	v_fma_f64 v[192:193], v[150:151], s[22:23], -v[203:204]
	v_add_f64 v[202:203], v[42:43], v[58:59]
	v_add_f64 v[120:121], v[205:206], v[120:121]
	v_mul_f64 v[205:206], v[170:171], s[36:37]
	s_delay_alu instid0(VALU_DEP_4) | instskip(SKIP_1) | instid1(VALU_DEP_3)
	v_add_f64 v[124:125], v[192:193], v[124:125]
	v_mul_f64 v[170:171], v[170:171], s[30:31]
	v_fma_f64 v[207:208], v[144:145], s[14:15], -v[205:206]
	v_fma_f64 v[192:193], v[144:145], s[14:15], v[205:206]
	v_add_f64 v[204:205], v[22:23], v[66:67]
	s_delay_alu instid0(VALU_DEP_3) | instskip(SKIP_1) | instid1(VALU_DEP_4)
	v_add_f64 v[122:123], v[207:208], v[122:123]
	v_mul_f64 v[207:208], v[168:169], s[36:37]
	v_add_f64 v[126:127], v[192:193], v[126:127]
	v_mul_f64 v[168:169], v[168:169], s[30:31]
	s_delay_alu instid0(VALU_DEP_3) | instskip(SKIP_1) | instid1(VALU_DEP_2)
	v_fma_f64 v[209:210], v[146:147], s[14:15], v[207:208]
	v_fma_f64 v[192:193], v[146:147], s[14:15], -v[207:208]
	v_add_f64 v[120:121], v[209:210], v[120:121]
	v_mul_f64 v[209:210], v[166:167], s[42:43]
	s_delay_alu instid0(VALU_DEP_3) | instskip(SKIP_1) | instid1(VALU_DEP_3)
	v_add_f64 v[124:125], v[192:193], v[124:125]
	v_mul_f64 v[166:167], v[166:167], s[46:47]
	v_fma_f64 v[211:212], v[136:137], s[8:9], -v[209:210]
	v_fma_f64 v[192:193], v[136:137], s[8:9], v[209:210]
	s_delay_alu instid0(VALU_DEP_2) | instskip(SKIP_1) | instid1(VALU_DEP_3)
	v_add_f64 v[122:123], v[211:212], v[122:123]
	v_mul_f64 v[211:212], v[164:165], s[42:43]
	v_add_f64 v[126:127], v[192:193], v[126:127]
	v_mul_f64 v[164:165], v[164:165], s[46:47]
	s_delay_alu instid0(VALU_DEP_3) | instskip(SKIP_1) | instid1(VALU_DEP_2)
	v_fma_f64 v[213:214], v[138:139], s[8:9], v[211:212]
	v_fma_f64 v[192:193], v[138:139], s[8:9], -v[211:212]
	v_add_f64 v[120:121], v[213:214], v[120:121]
	v_mul_f64 v[213:214], v[158:159], s[50:51]
	s_delay_alu instid0(VALU_DEP_3) | instskip(SKIP_1) | instid1(VALU_DEP_3)
	v_add_f64 v[124:125], v[192:193], v[124:125]
	v_mul_f64 v[158:159], v[158:159], s[26:27]
	v_fma_f64 v[215:216], v[128:129], s[18:19], -v[213:214]
	v_fma_f64 v[192:193], v[128:129], s[18:19], v[213:214]
	s_delay_alu instid0(VALU_DEP_2) | instskip(SKIP_1) | instid1(VALU_DEP_3)
	v_add_f64 v[122:123], v[215:216], v[122:123]
	v_mul_f64 v[215:216], v[156:157], s[50:51]
	v_add_f64 v[126:127], v[192:193], v[126:127]
	v_mul_f64 v[156:157], v[156:157], s[26:27]
	s_delay_alu instid0(VALU_DEP_3) | instskip(SKIP_2) | instid1(VALU_DEP_3)
	v_fma_f64 v[192:193], v[130:131], s[18:19], -v[215:216]
	v_fma_f64 v[217:218], v[130:131], s[18:19], v[215:216]
	v_add_f64 v[214:215], v[20:21], -v[64:65]
	v_add_f64 v[192:193], v[192:193], v[124:125]
	v_fma_f64 v[124:125], v[132:133], s[28:29], v[219:220]
	s_delay_alu instid0(VALU_DEP_4)
	v_add_f64 v[217:218], v[217:218], v[120:121]
	v_fma_f64 v[120:121], v[132:133], s[28:29], -v[219:220]
	v_mul_f64 v[230:231], v[214:215], s[20:21]
	v_mul_f64 v[252:253], v[214:215], s[26:27]
	v_add_f64 v[124:125], v[124:125], v[126:127]
	v_add_f64 v[126:127], v[194:195], v[192:193]
	v_fma_f64 v[192:193], v[160:161], s[14:15], -v[182:183]
	v_fma_f64 v[160:161], v[160:161], s[14:15], v[182:183]
	v_add_f64 v[120:121], v[120:121], v[122:123]
	v_fma_f64 v[122:123], v[134:135], s[28:29], v[221:222]
	v_add_f64 v[182:183], v[30:31], v[14:15]
	v_mul_f64 v[194:195], v[214:215], s[34:35]
	v_add_f64 v[190:191], v[192:193], v[190:191]
	v_fma_f64 v[192:193], v[162:163], s[14:15], v[180:181]
	v_fma_f64 v[162:163], v[162:163], s[14:15], -v[180:181]
	v_add_f64 v[160:161], v[160:161], v[184:185]
	v_add_f64 v[184:185], v[22:23], -v[66:67]
	v_add_f64 v[180:181], v[52:53], -v[0:1]
	v_add_f64 v[122:123], v[122:123], v[217:218]
	v_add_f64 v[188:189], v[192:193], v[188:189]
	v_fma_f64 v[192:193], v[152:153], s[16:17], -v[178:179]
	v_add_f64 v[162:163], v[162:163], v[186:187]
	v_fma_f64 v[152:153], v[152:153], s[16:17], v[178:179]
	v_add_f64 v[178:179], v[38:39], -v[50:51]
	v_add_f64 v[186:187], v[44:45], -v[4:5]
	v_mul_f64 v[224:225], v[184:185], s[20:21]
	v_mul_f64 v[242:243], v[184:185], s[26:27]
	v_add_f64 v[190:191], v[192:193], v[190:191]
	v_fma_f64 v[192:193], v[154:155], s[16:17], v[176:177]
	v_fma_f64 v[154:155], v[154:155], s[16:17], -v[176:177]
	v_add_f64 v[152:153], v[152:153], v[160:161]
	v_mul_f64 v[176:177], v[214:215], s[30:31]
	v_mul_f64 v[226:227], v[178:179], s[52:53]
	v_add_f64 v[188:189], v[192:193], v[188:189]
	v_fma_f64 v[192:193], v[148:149], s[18:19], -v[174:175]
	v_add_f64 v[154:155], v[154:155], v[162:163]
	v_fma_f64 v[148:149], v[148:149], s[18:19], v[174:175]
	v_add_f64 v[162:163], v[34:35], -v[18:19]
	v_add_f64 v[174:175], v[36:37], v[48:49]
	v_add_f64 v[190:191], v[192:193], v[190:191]
	v_fma_f64 v[192:193], v[150:151], s[18:19], v[172:173]
	v_fma_f64 v[150:151], v[150:151], s[18:19], -v[172:173]
	v_add_f64 v[148:149], v[148:149], v[152:153]
	v_add_f64 v[152:153], v[28:29], v[12:13]
	v_mul_f64 v[172:173], v[184:185], s[30:31]
	v_add_f64 v[188:189], v[192:193], v[188:189]
	v_fma_f64 v[192:193], v[144:145], s[22:23], -v[170:171]
	v_add_f64 v[150:151], v[150:151], v[154:155]
	v_fma_f64 v[144:145], v[144:145], s[22:23], v[170:171]
	v_add_f64 v[170:171], v[26:27], v[62:63]
	s_delay_alu instid0(VALU_DEP_4)
	v_add_f64 v[190:191], v[192:193], v[190:191]
	v_fma_f64 v[192:193], v[146:147], s[22:23], v[168:169]
	v_fma_f64 v[146:147], v[146:147], s[22:23], -v[168:169]
	v_add_f64 v[144:145], v[144:145], v[148:149]
	v_add_f64 v[168:169], v[20:21], v[64:65]
	v_add_f64 v[148:149], v[40:41], -v[56:57]
	v_add_f64 v[188:189], v[192:193], v[188:189]
	v_fma_f64 v[192:193], v[136:137], s[24:25], -v[166:167]
	v_add_f64 v[146:147], v[146:147], v[150:151]
	v_fma_f64 v[136:137], v[136:137], s[24:25], v[166:167]
	v_add_f64 v[150:151], v[46:47], -v[6:7]
	v_mul_f64 v[222:223], v[148:149], s[38:39]
	v_add_f64 v[190:191], v[192:193], v[190:191]
	v_fma_f64 v[192:193], v[138:139], s[24:25], v[164:165]
	v_fma_f64 v[138:139], v[138:139], s[24:25], -v[164:165]
	v_add_f64 v[136:137], v[136:137], v[144:145]
	v_add_f64 v[144:145], v[26:27], -v[62:63]
	v_add_f64 v[164:165], v[46:47], v[6:7]
	v_add_f64 v[188:189], v[192:193], v[188:189]
	v_fma_f64 v[192:193], v[128:129], s[28:29], -v[158:159]
	v_add_f64 v[138:139], v[138:139], v[146:147]
	v_fma_f64 v[128:129], v[128:129], s[28:29], v[158:159]
	v_add_f64 v[158:159], v[32:33], v[16:17]
	v_add_f64 v[146:147], v[44:45], v[4:5]
	v_mul_f64 v[240:241], v[144:145], s[46:47]
	v_add_f64 v[190:191], v[192:193], v[190:191]
	v_fma_f64 v[192:193], v[130:131], s[28:29], v[156:157]
	v_fma_f64 v[130:131], v[130:131], s[28:29], -v[156:157]
	v_add_f64 v[128:129], v[128:129], v[136:137]
	v_add_f64 v[156:157], v[30:31], -v[14:15]
	s_delay_alu instid0(VALU_DEP_4) | instskip(SKIP_4) | instid1(VALU_DEP_4)
	v_add_f64 v[188:189], v[192:193], v[188:189]
	v_fma_f64 v[192:193], v[132:133], s[0:1], -v[142:143]
	v_add_f64 v[130:131], v[130:131], v[138:139]
	v_fma_f64 v[132:133], v[132:133], s[0:1], v[142:143]
	v_mul_f64 v[246:247], v[156:157], s[20:21]
	v_add_f64 v[206:207], v[192:193], v[190:191]
	v_fma_f64 v[190:191], v[134:135], s[0:1], v[140:141]
	v_fma_f64 v[134:135], v[134:135], s[0:1], -v[140:141]
	v_add_f64 v[210:211], v[132:133], v[128:129]
	v_mul_f64 v[128:129], v[184:185], s[36:37]
	v_add_f64 v[140:141], v[24:25], v[60:61]
	v_mul_f64 v[60:61], v[236:237], s[38:39]
	v_add_f64 v[192:193], v[40:41], v[56:57]
	v_add_f64 v[208:209], v[190:191], v[188:189]
	;; [unrolled: 1-line block ×3, first 2 shown]
	v_mul_f64 v[130:131], v[144:145], s[38:39]
	v_add_f64 v[188:189], v[34:35], v[18:19]
	v_mul_f64 v[190:191], v[184:185], s[34:35]
	scratch_store_b64 off, v[60:61], off offset:604 ; 8-byte Folded Spill
	v_fma_f64 v[132:133], v[170:171], s[18:19], -v[60:61]
	v_mul_f64 v[60:61], v[156:157], s[40:41]
	scratch_store_b64 off, v[128:129], off offset:1084 ; 8-byte Folded Spill
	v_fma_f64 v[128:129], v[168:169], s[14:15], v[128:129]
	scratch_store_b64 off, v[130:131], off offset:508 ; 8-byte Folded Spill
	v_fma_f64 v[130:131], v[140:141], s[18:19], v[130:131]
	scratch_store_b64 off, v[60:61], off offset:540 ; 8-byte Folded Spill
	v_add_f64 v[128:129], v[8:9], v[128:129]
	s_delay_alu instid0(VALU_DEP_1) | instskip(SKIP_3) | instid1(VALU_DEP_1)
	v_add_f64 v[128:129], v[130:131], v[128:129]
	v_mul_f64 v[130:131], v[214:215], s[36:37]
	scratch_store_b64 off, v[130:131], off offset:1164 ; 8-byte Folded Spill
	v_fma_f64 v[130:131], v[204:205], s[14:15], -v[130:131]
	v_add_f64 v[130:131], v[10:11], v[130:131]
	s_delay_alu instid0(VALU_DEP_1) | instskip(SKIP_2) | instid1(VALU_DEP_2)
	v_add_f64 v[130:131], v[132:133], v[130:131]
	v_fma_f64 v[132:133], v[152:153], s[24:25], v[60:61]
	v_mul_f64 v[60:61], v[244:245], s[40:41]
	v_add_f64 v[128:129], v[132:133], v[128:129]
	scratch_store_b64 off, v[60:61], off offset:636 ; 8-byte Folded Spill
	v_fma_f64 v[132:133], v[182:183], s[24:25], -v[60:61]
	v_mul_f64 v[60:61], v[162:163], s[20:21]
	s_delay_alu instid0(VALU_DEP_2) | instskip(SKIP_3) | instid1(VALU_DEP_2)
	v_add_f64 v[130:131], v[132:133], v[130:131]
	scratch_store_b64 off, v[60:61], off offset:556 ; 8-byte Folded Spill
	v_fma_f64 v[132:133], v[158:159], s[0:1], v[60:61]
	v_mul_f64 v[60:61], v[248:249], s[20:21]
	v_add_f64 v[128:129], v[132:133], v[128:129]
	scratch_store_b64 off, v[60:61], off offset:652 ; 8-byte Folded Spill
	v_fma_f64 v[132:133], v[188:189], s[0:1], -v[60:61]
	v_mul_f64 v[60:61], v[178:179], s[26:27]
	s_delay_alu instid0(VALU_DEP_2) | instskip(SKIP_3) | instid1(VALU_DEP_2)
	v_add_f64 v[130:131], v[132:133], v[130:131]
	scratch_store_b64 off, v[60:61], off offset:620 ; 8-byte Folded Spill
	;; [unrolled: 9-line block ×4, first 2 shown]
	v_fma_f64 v[132:133], v[146:147], s[16:17], v[60:61]
	v_mul_f64 v[60:61], v[186:187], s[34:35]
	v_add_f64 v[134:135], v[132:133], v[128:129]
	s_delay_alu instid0(VALU_DEP_2)
	v_fma_f64 v[128:129], v[164:165], s[16:17], -v[60:61]
	v_add_f64 v[132:133], v[54:55], -v[2:3]
	scratch_store_b64 off, v[60:61], off offset:572 ; 8-byte Folded Spill
	v_add_f64 v[130:131], v[128:129], v[130:131]
	v_add_f64 v[128:129], v[52:53], v[0:1]
	v_mul_f64 v[60:61], v[132:133], s[42:43]
	scratch_store_b64 off, v[132:133], off offset:460 ; 8-byte Folded Spill
	v_fma_f64 v[136:137], v[128:129], s[8:9], v[60:61]
	scratch_store_b64 off, v[60:61], off offset:476 ; 8-byte Folded Spill
	v_add_f64 v[60:61], v[136:137], v[134:135]
	v_mul_f64 v[134:135], v[180:181], s[42:43]
	s_delay_alu instid0(VALU_DEP_1) | instskip(NEXT) | instid1(VALU_DEP_1)
	v_fma_f64 v[136:137], v[238:239], s[8:9], -v[134:135]
	v_add_f64 v[62:63], v[136:137], v[130:131]
	scratch_store_b128 off, v[60:63], off offset:4 ; 16-byte Folded Spill
	v_mul_f64 v[60:61], v[184:185], s[38:39]
	v_mul_f64 v[62:63], v[180:181], s[48:49]
	scratch_store_b64 off, v[60:61], off offset:1436 ; 8-byte Folded Spill
	v_fma_f64 v[130:131], v[168:169], s[18:19], v[60:61]
	v_mul_f64 v[60:61], v[144:145], s[20:21]
	scratch_store_b64 off, v[62:63], off offset:588 ; 8-byte Folded Spill
	v_add_f64 v[130:131], v[8:9], v[130:131]
	scratch_store_b64 off, v[60:61], off offset:764 ; 8-byte Folded Spill
	v_fma_f64 v[136:137], v[140:141], s[0:1], v[60:61]
	v_mul_f64 v[60:61], v[214:215], s[38:39]
	s_delay_alu instid0(VALU_DEP_2) | instskip(SKIP_3) | instid1(VALU_DEP_2)
	v_add_f64 v[130:131], v[136:137], v[130:131]
	scratch_store_b64 off, v[60:61], off offset:1452 ; 8-byte Folded Spill
	v_fma_f64 v[136:137], v[204:205], s[18:19], -v[60:61]
	v_mul_f64 v[60:61], v[236:237], s[20:21]
	v_add_f64 v[136:137], v[10:11], v[136:137]
	scratch_store_b64 off, v[60:61], off offset:804 ; 8-byte Folded Spill
	v_fma_f64 v[138:139], v[170:171], s[0:1], -v[60:61]
	v_mul_f64 v[60:61], v[156:157], s[30:31]
	s_delay_alu instid0(VALU_DEP_2) | instskip(SKIP_3) | instid1(VALU_DEP_2)
	v_add_f64 v[136:137], v[138:139], v[136:137]
	scratch_store_b64 off, v[60:61], off offset:788 ; 8-byte Folded Spill
	v_fma_f64 v[138:139], v[152:153], s[22:23], v[60:61]
	v_mul_f64 v[60:61], v[244:245], s[30:31]
	v_add_f64 v[130:131], v[138:139], v[130:131]
	scratch_store_b64 off, v[60:61], off offset:836 ; 8-byte Folded Spill
	v_fma_f64 v[138:139], v[182:183], s[22:23], -v[60:61]
	v_mul_f64 v[60:61], v[162:163], s[42:43]
	s_delay_alu instid0(VALU_DEP_2) | instskip(SKIP_3) | instid1(VALU_DEP_2)
	v_add_f64 v[136:137], v[138:139], v[136:137]
	scratch_store_b64 off, v[60:61], off offset:820 ; 8-byte Folded Spill
	v_fma_f64 v[138:139], v[158:159], s[8:9], v[60:61]
	;; [unrolled: 9-line block ×5, first 2 shown]
	v_mul_f64 v[60:61], v[186:187], s[46:47]
	v_add_f64 v[130:131], v[138:139], v[130:131]
	scratch_store_b64 off, v[60:61], off offset:732 ; 8-byte Folded Spill
	v_fma_f64 v[138:139], v[164:165], s[24:25], -v[60:61]
	v_mul_f64 v[60:61], v[132:133], s[48:49]
	s_delay_alu instid0(VALU_DEP_2) | instskip(NEXT) | instid1(VALU_DEP_2)
	v_add_f64 v[136:137], v[138:139], v[136:137]
	v_fma_f64 v[138:139], v[128:129], s[14:15], v[60:61]
	scratch_store_b64 off, v[60:61], off offset:492 ; 8-byte Folded Spill
	v_add_f64 v[60:61], v[138:139], v[130:131]
	v_fma_f64 v[130:131], v[238:239], s[14:15], -v[62:63]
	s_delay_alu instid0(VALU_DEP_1)
	v_add_f64 v[62:63], v[130:131], v[136:137]
	scratch_store_b128 off, v[60:63], off offset:20 ; 16-byte Folded Spill
	v_mul_f64 v[60:61], v[184:185], s[40:41]
	v_mul_f64 v[62:63], v[180:181], s[34:35]
	scratch_store_b64 off, v[60:61], off offset:1592 ; 8-byte Folded Spill
	v_fma_f64 v[130:131], v[168:169], s[24:25], v[60:61]
	v_mul_f64 v[60:61], v[144:145], s[30:31]
	scratch_store_b64 off, v[62:63], off offset:772 ; 8-byte Folded Spill
	v_add_f64 v[130:131], v[8:9], v[130:131]
	scratch_store_b64 off, v[60:61], off offset:948 ; 8-byte Folded Spill
	v_fma_f64 v[136:137], v[140:141], s[22:23], v[60:61]
	v_mul_f64 v[60:61], v[214:215], s[40:41]
	s_delay_alu instid0(VALU_DEP_2) | instskip(SKIP_3) | instid1(VALU_DEP_2)
	v_add_f64 v[130:131], v[136:137], v[130:131]
	scratch_store_b64 off, v[60:61], off offset:1608 ; 8-byte Folded Spill
	v_fma_f64 v[136:137], v[204:205], s[24:25], -v[60:61]
	v_mul_f64 v[60:61], v[236:237], s[30:31]
	v_add_f64 v[136:137], v[10:11], v[136:137]
	scratch_store_b64 off, v[60:61], off offset:988 ; 8-byte Folded Spill
	v_fma_f64 v[138:139], v[170:171], s[22:23], -v[60:61]
	v_mul_f64 v[60:61], v[156:157], s[56:57]
	s_delay_alu instid0(VALU_DEP_2) | instskip(SKIP_3) | instid1(VALU_DEP_2)
	v_add_f64 v[136:137], v[138:139], v[136:137]
	scratch_store_b64 off, v[60:61], off offset:964 ; 8-byte Folded Spill
	v_fma_f64 v[138:139], v[152:153], s[8:9], v[60:61]
	v_mul_f64 v[60:61], v[244:245], s[56:57]
	v_add_f64 v[130:131], v[138:139], v[130:131]
	scratch_store_b64 off, v[60:61], off offset:1020 ; 8-byte Folded Spill
	v_fma_f64 v[138:139], v[182:183], s[8:9], -v[60:61]
	v_mul_f64 v[60:61], v[162:163], s[44:45]
	s_delay_alu instid0(VALU_DEP_2) | instskip(SKIP_3) | instid1(VALU_DEP_2)
	v_add_f64 v[136:137], v[138:139], v[136:137]
	scratch_store_b64 off, v[60:61], off offset:1004 ; 8-byte Folded Spill
	v_fma_f64 v[138:139], v[158:159], s[28:29], v[60:61]
	;; [unrolled: 9-line block ×5, first 2 shown]
	v_mul_f64 v[60:61], v[186:187], s[20:21]
	v_add_f64 v[130:131], v[138:139], v[130:131]
	scratch_store_b64 off, v[60:61], off offset:884 ; 8-byte Folded Spill
	v_fma_f64 v[138:139], v[164:165], s[0:1], -v[60:61]
	v_mul_f64 v[60:61], v[132:133], s[34:35]
	s_delay_alu instid0(VALU_DEP_2) | instskip(NEXT) | instid1(VALU_DEP_2)
	v_add_f64 v[136:137], v[138:139], v[136:137]
	v_fma_f64 v[138:139], v[128:129], s[16:17], v[60:61]
	scratch_store_b64 off, v[60:61], off offset:748 ; 8-byte Folded Spill
	v_add_f64 v[60:61], v[138:139], v[130:131]
	v_fma_f64 v[130:131], v[238:239], s[16:17], -v[62:63]
	s_delay_alu instid0(VALU_DEP_1)
	v_add_f64 v[62:63], v[130:131], v[136:137]
	v_fma_f64 v[130:131], v[168:169], s[0:1], v[224:225]
	scratch_store_b128 off, v[60:63], off offset:36 ; 16-byte Folded Spill
	v_mul_f64 v[60:61], v[144:145], s[42:43]
	v_add_f64 v[130:131], v[8:9], v[130:131]
	v_mul_f64 v[62:63], v[180:181], s[50:51]
	s_delay_alu instid0(VALU_DEP_3)
	v_fma_f64 v[136:137], v[140:141], s[8:9], v[60:61]
	scratch_store_b64 off, v[60:61], off offset:1212 ; 8-byte Folded Spill
	v_mul_f64 v[60:61], v[236:237], s[42:43]
	scratch_store_b64 off, v[62:63], off offset:940 ; 8-byte Folded Spill
	v_add_f64 v[130:131], v[136:137], v[130:131]
	v_fma_f64 v[136:137], v[204:205], s[0:1], -v[230:231]
	scratch_store_b64 off, v[60:61], off offset:1244 ; 8-byte Folded Spill
	v_fma_f64 v[138:139], v[170:171], s[8:9], -v[60:61]
	v_mul_f64 v[60:61], v[156:157], s[44:45]
	v_add_f64 v[136:137], v[10:11], v[136:137]
	scratch_store_b64 off, v[60:61], off offset:1228 ; 8-byte Folded Spill
	v_add_f64 v[136:137], v[138:139], v[136:137]
	v_fma_f64 v[138:139], v[152:153], s[28:29], v[60:61]
	v_mul_f64 v[60:61], v[244:245], s[44:45]
	s_delay_alu instid0(VALU_DEP_2) | instskip(SKIP_3) | instid1(VALU_DEP_2)
	v_add_f64 v[130:131], v[138:139], v[130:131]
	scratch_store_b64 off, v[60:61], off offset:1308 ; 8-byte Folded Spill
	v_fma_f64 v[138:139], v[182:183], s[28:29], -v[60:61]
	v_mul_f64 v[60:61], v[162:163], s[48:49]
	v_add_f64 v[136:137], v[138:139], v[136:137]
	scratch_store_b64 off, v[60:61], off offset:1276 ; 8-byte Folded Spill
	v_fma_f64 v[138:139], v[158:159], s[14:15], v[60:61]
	v_mul_f64 v[60:61], v[248:249], s[48:49]
	s_delay_alu instid0(VALU_DEP_2) | instskip(SKIP_3) | instid1(VALU_DEP_2)
	v_add_f64 v[130:131], v[138:139], v[130:131]
	scratch_store_b64 off, v[60:61], off offset:1340 ; 8-byte Folded Spill
	v_fma_f64 v[138:139], v[188:189], s[14:15], -v[60:61]
	v_mul_f64 v[60:61], v[178:179], s[40:41]
	v_add_f64 v[136:137], v[138:139], v[136:137]
	scratch_store_b64 off, v[60:61], off offset:1324 ; 8-byte Folded Spill
	v_fma_f64 v[138:139], v[174:175], s[24:25], v[60:61]
	v_mul_f64 v[60:61], v[254:255], s[40:41]
	s_delay_alu instid0(VALU_DEP_2) | instskip(SKIP_3) | instid1(VALU_DEP_2)
	v_add_f64 v[130:131], v[138:139], v[130:131]
	scratch_store_b64 off, v[60:61], off offset:1372 ; 8-byte Folded Spill
	v_fma_f64 v[138:139], v[198:199], s[24:25], -v[60:61]
	v_mul_f64 v[60:61], v[196:197], s[34:35]
	v_add_f64 v[136:137], v[138:139], v[136:137]
	scratch_store_b64 off, v[60:61], off offset:1356 ; 8-byte Folded Spill
	v_fma_f64 v[138:139], v[192:193], s[16:17], v[60:61]
	v_mul_f64 v[60:61], v[148:149], s[34:35]
	s_delay_alu instid0(VALU_DEP_2) | instskip(SKIP_3) | instid1(VALU_DEP_2)
	v_add_f64 v[130:131], v[138:139], v[130:131]
	scratch_store_b64 off, v[60:61], off offset:1404 ; 8-byte Folded Spill
	v_fma_f64 v[138:139], v[202:203], s[16:17], -v[60:61]
	v_mul_f64 v[60:61], v[150:151], s[58:59]
	v_add_f64 v[136:137], v[138:139], v[136:137]
	scratch_store_b64 off, v[60:61], off offset:956 ; 8-byte Folded Spill
	v_fma_f64 v[138:139], v[146:147], s[22:23], v[60:61]
	v_mul_f64 v[60:61], v[186:187], s[58:59]
	s_delay_alu instid0(VALU_DEP_2) | instskip(SKIP_3) | instid1(VALU_DEP_2)
	v_add_f64 v[130:131], v[138:139], v[130:131]
	scratch_store_b64 off, v[60:61], off offset:972 ; 8-byte Folded Spill
	v_fma_f64 v[138:139], v[164:165], s[22:23], -v[60:61]
	v_mul_f64 v[60:61], v[132:133], s[50:51]
	v_add_f64 v[136:137], v[138:139], v[136:137]
	s_delay_alu instid0(VALU_DEP_2) | instskip(SKIP_3) | instid1(VALU_DEP_1)
	v_fma_f64 v[138:139], v[128:129], s[18:19], v[60:61]
	scratch_store_b64 off, v[60:61], off offset:932 ; 8-byte Folded Spill
	v_add_f64 v[60:61], v[138:139], v[130:131]
	v_fma_f64 v[130:131], v[238:239], s[18:19], -v[62:63]
	v_add_f64 v[62:63], v[130:131], v[136:137]
	v_fma_f64 v[130:131], v[168:169], s[28:29], v[242:243]
	scratch_store_b128 off, v[60:63], off offset:52 ; 16-byte Folded Spill
	v_mul_f64 v[60:61], v[144:145], s[54:55]
	v_add_f64 v[130:131], v[8:9], v[130:131]
	v_mul_f64 v[62:63], v[180:181], s[30:31]
	s_delay_alu instid0(VALU_DEP_3)
	v_fma_f64 v[136:137], v[140:141], s[16:17], v[60:61]
	scratch_store_b64 off, v[60:61], off offset:1468 ; 8-byte Folded Spill
	v_mul_f64 v[60:61], v[236:237], s[54:55]
	scratch_store_b64 off, v[62:63], off offset:1116 ; 8-byte Folded Spill
	v_add_f64 v[130:131], v[136:137], v[130:131]
	v_fma_f64 v[136:137], v[204:205], s[28:29], -v[252:253]
	scratch_store_b64 off, v[60:61], off offset:1500 ; 8-byte Folded Spill
	v_fma_f64 v[138:139], v[170:171], s[16:17], -v[60:61]
	v_mul_f64 v[60:61], v[156:157], s[50:51]
	v_add_f64 v[136:137], v[10:11], v[136:137]
	scratch_store_b64 off, v[60:61], off offset:1484 ; 8-byte Folded Spill
	v_add_f64 v[136:137], v[138:139], v[136:137]
	v_fma_f64 v[138:139], v[152:153], s[18:19], v[60:61]
	v_mul_f64 v[60:61], v[244:245], s[50:51]
	s_delay_alu instid0(VALU_DEP_2) | instskip(SKIP_3) | instid1(VALU_DEP_2)
	v_add_f64 v[130:131], v[138:139], v[130:131]
	scratch_store_b64 off, v[60:61], off offset:1524 ; 8-byte Folded Spill
	v_fma_f64 v[138:139], v[182:183], s[18:19], -v[60:61]
	v_mul_f64 v[60:61], v[162:163], s[40:41]
	v_add_f64 v[136:137], v[138:139], v[136:137]
	scratch_store_b64 off, v[60:61], off offset:1516 ; 8-byte Folded Spill
	v_fma_f64 v[138:139], v[158:159], s[24:25], v[60:61]
	v_mul_f64 v[60:61], v[248:249], s[40:41]
	s_delay_alu instid0(VALU_DEP_2) | instskip(SKIP_3) | instid1(VALU_DEP_2)
	v_add_f64 v[130:131], v[138:139], v[130:131]
	scratch_store_b64 off, v[60:61], off offset:1556 ; 8-byte Folded Spill
	v_fma_f64 v[138:139], v[188:189], s[24:25], -v[60:61]
	v_mul_f64 v[60:61], v[178:179], s[42:43]
	v_add_f64 v[136:137], v[138:139], v[136:137]
	scratch_store_b64 off, v[60:61], off offset:1532 ; 8-byte Folded Spill
	;; [unrolled: 9-line block ×4, first 2 shown]
	v_fma_f64 v[138:139], v[146:147], s[14:15], v[60:61]
	v_mul_f64 v[60:61], v[186:187], s[36:37]
	s_delay_alu instid0(VALU_DEP_2) | instskip(SKIP_3) | instid1(VALU_DEP_2)
	v_add_f64 v[130:131], v[138:139], v[130:131]
	scratch_store_b64 off, v[60:61], off offset:1196 ; 8-byte Folded Spill
	v_fma_f64 v[138:139], v[164:165], s[14:15], -v[60:61]
	v_mul_f64 v[60:61], v[132:133], s[30:31]
	v_add_f64 v[136:137], v[138:139], v[136:137]
	s_delay_alu instid0(VALU_DEP_2) | instskip(SKIP_3) | instid1(VALU_DEP_1)
	v_fma_f64 v[138:139], v[128:129], s[22:23], v[60:61]
	scratch_store_b64 off, v[60:61], off offset:1068 ; 8-byte Folded Spill
	v_add_f64 v[60:61], v[138:139], v[130:131]
	v_fma_f64 v[130:131], v[238:239], s[22:23], -v[62:63]
	v_add_f64 v[62:63], v[130:131], v[136:137]
	v_fma_f64 v[130:131], v[168:169], s[22:23], v[172:173]
	scratch_store_b128 off, v[60:63], off offset:68 ; 16-byte Folded Spill
	v_mul_f64 v[60:61], v[144:145], s[44:45]
	v_add_f64 v[130:131], v[8:9], v[130:131]
	v_mul_f64 v[62:63], v[180:181], s[46:47]
	s_delay_alu instid0(VALU_DEP_3)
	v_fma_f64 v[136:137], v[140:141], s[28:29], v[60:61]
	scratch_store_b64 off, v[60:61], off offset:1616 ; 8-byte Folded Spill
	v_mul_f64 v[60:61], v[236:237], s[44:45]
	scratch_store_b64 off, v[62:63], off offset:1292 ; 8-byte Folded Spill
	v_add_f64 v[130:131], v[136:137], v[130:131]
	v_fma_f64 v[136:137], v[204:205], s[22:23], -v[176:177]
	scratch_store_b64 off, v[60:61], off offset:1632 ; 8-byte Folded Spill
	v_fma_f64 v[138:139], v[170:171], s[28:29], -v[60:61]
	v_mul_f64 v[60:61], v[156:157], s[36:37]
	v_add_f64 v[136:137], v[10:11], v[136:137]
	scratch_store_b64 off, v[60:61], off offset:1624 ; 8-byte Folded Spill
	v_add_f64 v[136:137], v[138:139], v[136:137]
	v_fma_f64 v[138:139], v[152:153], s[14:15], v[60:61]
	v_mul_f64 v[60:61], v[244:245], s[36:37]
	s_delay_alu instid0(VALU_DEP_2) | instskip(SKIP_3) | instid1(VALU_DEP_2)
	v_add_f64 v[130:131], v[138:139], v[130:131]
	scratch_store_b64 off, v[60:61], off offset:1648 ; 8-byte Folded Spill
	v_fma_f64 v[138:139], v[182:183], s[14:15], -v[60:61]
	v_mul_f64 v[60:61], v[162:163], s[34:35]
	v_add_f64 v[136:137], v[138:139], v[136:137]
	s_delay_alu instid0(VALU_DEP_2)
	v_fma_f64 v[138:139], v[158:159], s[16:17], v[60:61]
	scratch_store_b64 off, v[60:61], off offset:1640 ; 8-byte Folded Spill
	v_mul_f64 v[60:61], v[150:151], s[42:43]
	v_add_f64 v[130:131], v[138:139], v[130:131]
	v_fma_f64 v[138:139], v[188:189], s[16:17], -v[228:229]
	scratch_store_b64 off, v[60:61], off offset:1388 ; 8-byte Folded Spill
	v_add_f64 v[136:137], v[138:139], v[136:137]
	v_fma_f64 v[138:139], v[174:175], s[0:1], v[226:227]
	s_delay_alu instid0(VALU_DEP_1) | instskip(SKIP_1) | instid1(VALU_DEP_1)
	v_add_f64 v[130:131], v[138:139], v[130:131]
	v_fma_f64 v[138:139], v[198:199], s[0:1], -v[234:235]
	v_add_f64 v[136:137], v[138:139], v[136:137]
	v_fma_f64 v[138:139], v[192:193], s[18:19], v[232:233]
	s_delay_alu instid0(VALU_DEP_1) | instskip(SKIP_1) | instid1(VALU_DEP_1)
	v_add_f64 v[130:131], v[138:139], v[130:131]
	v_fma_f64 v[138:139], v[202:203], s[18:19], -v[222:223]
	v_add_f64 v[136:137], v[138:139], v[136:137]
	v_fma_f64 v[138:139], v[146:147], s[8:9], v[60:61]
	v_mul_f64 v[60:61], v[186:187], s[42:43]
	s_delay_alu instid0(VALU_DEP_2) | instskip(SKIP_4) | instid1(VALU_DEP_3)
	v_add_f64 v[130:131], v[138:139], v[130:131]
	scratch_store_b64 off, v[60:61], off offset:1420 ; 8-byte Folded Spill
	v_fma_f64 v[138:139], v[164:165], s[8:9], -v[60:61]
	v_mul_f64 v[60:61], v[132:133], s[46:47]
	v_mul_f64 v[132:133], v[132:133], s[26:27]
	v_add_f64 v[136:137], v[138:139], v[136:137]
	s_delay_alu instid0(VALU_DEP_3) | instskip(SKIP_4) | instid1(VALU_DEP_2)
	v_fma_f64 v[138:139], v[128:129], s[24:25], v[60:61]
	scratch_store_b64 off, v[60:61], off offset:1260 ; 8-byte Folded Spill
	v_add_f64 v[60:61], v[138:139], v[130:131]
	v_fma_f64 v[130:131], v[238:239], s[24:25], -v[62:63]
	v_fma_f64 v[138:139], v[170:171], s[24:25], -v[250:251]
	v_add_f64 v[62:63], v[130:131], v[136:137]
	v_fma_f64 v[130:131], v[168:169], s[16:17], v[190:191]
	v_fma_f64 v[136:137], v[140:141], s[24:25], v[240:241]
	scratch_store_b128 off, v[60:63], off offset:84 ; 16-byte Folded Spill
	v_add_f64 v[130:131], v[8:9], v[130:131]
	v_mul_f64 v[60:61], v[150:151], s[50:51]
	s_delay_alu instid0(VALU_DEP_2) | instskip(SKIP_3) | instid1(VALU_DEP_1)
	v_add_f64 v[130:131], v[136:137], v[130:131]
	v_fma_f64 v[136:137], v[204:205], s[16:17], -v[194:195]
	scratch_store_b64 off, v[60:61], off offset:1548 ; 8-byte Folded Spill
	v_add_f64 v[136:137], v[10:11], v[136:137]
	v_add_f64 v[138:139], v[138:139], v[136:137]
	v_fma_f64 v[136:137], v[152:153], s[0:1], v[246:247]
	s_delay_alu instid0(VALU_DEP_1) | instskip(SKIP_1) | instid1(VALU_DEP_1)
	v_add_f64 v[142:143], v[136:137], v[130:131]
	v_mul_f64 v[136:137], v[244:245], s[20:21]
	v_fma_f64 v[130:131], v[182:183], s[0:1], -v[136:137]
	s_delay_alu instid0(VALU_DEP_1) | instskip(SKIP_1) | instid1(VALU_DEP_1)
	v_add_f64 v[138:139], v[130:131], v[138:139]
	v_mul_f64 v[130:131], v[162:163], s[58:59]
	v_fma_f64 v[154:155], v[158:159], s[22:23], v[130:131]
	s_delay_alu instid0(VALU_DEP_1) | instskip(SKIP_1) | instid1(VALU_DEP_1)
	v_add_f64 v[154:155], v[154:155], v[142:143]
	v_mul_f64 v[142:143], v[248:249], s[58:59]
	v_fma_f64 v[160:161], v[188:189], s[22:23], -v[142:143]
	s_delay_alu instid0(VALU_DEP_1) | instskip(SKIP_1) | instid1(VALU_DEP_1)
	v_add_f64 v[166:167], v[160:161], v[138:139]
	v_mul_f64 v[138:139], v[178:179], s[36:37]
	;; [unrolled: 8-line block ×3, first 2 shown]
	v_fma_f64 v[166:167], v[192:193], s[8:9], v[154:155]
	s_delay_alu instid0(VALU_DEP_1) | instskip(SKIP_1) | instid1(VALU_DEP_1)
	v_add_f64 v[216:217], v[166:167], v[216:217]
	v_mul_f64 v[166:167], v[148:149], s[42:43]
	v_fma_f64 v[220:221], v[202:203], s[8:9], -v[166:167]
	s_delay_alu instid0(VALU_DEP_1) | instskip(SKIP_2) | instid1(VALU_DEP_2)
	v_add_f64 v[218:219], v[220:221], v[218:219]
	v_fma_f64 v[220:221], v[146:147], s[18:19], v[60:61]
	v_mul_f64 v[60:61], v[186:187], s[50:51]
	v_add_f64 v[216:217], v[220:221], v[216:217]
	s_delay_alu instid0(VALU_DEP_2) | instskip(SKIP_3) | instid1(VALU_DEP_1)
	v_fma_f64 v[220:221], v[164:165], s[18:19], -v[60:61]
	scratch_store_b64 off, v[60:61], off offset:1564 ; 8-byte Folded Spill
	v_add_f64 v[218:219], v[220:221], v[218:219]
	v_fma_f64 v[220:221], v[128:129], s[28:29], v[132:133]
	v_add_f64 v[60:61], v[220:221], v[216:217]
	v_mul_f64 v[220:221], v[180:181], s[26:27]
	s_delay_alu instid0(VALU_DEP_1) | instskip(NEXT) | instid1(VALU_DEP_1)
	v_fma_f64 v[216:217], v[238:239], s[28:29], -v[220:221]
	v_add_f64 v[62:63], v[216:217], v[218:219]
	scratch_store_b128 off, v[60:63], off offset:100 ; 16-byte Folded Spill
	scratch_load_b32 v61, off, off          ; 4-byte Folded Reload
	s_waitcnt vmcnt(0)
	s_waitcnt_vscnt null, 0x0
	s_barrier
	buffer_gl0_inv
	v_mul_lo_u16 v60, v61, 17
	s_delay_alu instid0(VALU_DEP_1) | instskip(NEXT) | instid1(VALU_DEP_1)
	v_and_b32_e32 v60, 0xffff, v60
	v_lshlrev_b32_e32 v201, 4, v60
	ds_store_b128 v201, v[72:75]
	ds_store_b128 v201, v[76:79] offset:16
	ds_store_b128 v201, v[84:87] offset:32
	;; [unrolled: 1-line block ×16, first 2 shown]
	v_add_co_u32 v120, s33, v61, 51
	s_delay_alu instid0(VALU_DEP_1) | instskip(NEXT) | instid1(VALU_DEP_2)
	v_add_co_ci_u32_e64 v60, null, 0, 0, s33
	v_mul_u32_u24_e32 v60, 17, v120
	scratch_store_b32 off, v60, off offset:1580 ; 4-byte Folded Spill
	s_and_saveexec_b32 s33, vcc_lo
	s_cbranch_execz .LBB0_7
; %bb.6:
	v_add_f64 v[20:21], v[8:9], v[20:21]
	v_add_f64 v[22:23], v[10:11], v[22:23]
	v_mul_f64 v[68:69], v[202:203], s[8:9]
	v_mul_f64 v[78:79], v[192:193], s[8:9]
	;; [unrolled: 1-line block ×36, first 2 shown]
	v_add_f64 v[20:21], v[20:21], v[24:25]
	v_add_f64 v[22:23], v[22:23], v[26:27]
	v_mul_f64 v[24:25], v[204:205], s[16:17]
	v_mul_f64 v[26:27], v[168:169], s[16:17]
	;; [unrolled: 1-line block ×8, first 2 shown]
	scratch_store_b64 off, v[134:135], off offset:1656 ; 8-byte Folded Spill
	v_add_f64 v[82:83], v[82:83], -v[130:131]
	v_mul_f64 v[130:131], v[140:141], s[16:17]
	v_add_f64 v[74:75], v[136:137], v[74:75]
	v_mul_f64 v[136:137], v[202:203], s[16:17]
	v_add_f64 v[80:81], v[80:81], -v[138:139]
	v_mul_f64 v[138:139], v[198:199], s[24:25]
	v_add_f64 v[72:73], v[142:143], v[72:73]
	v_mul_f64 v[142:143], v[188:189], s[14:15]
	v_add_f64 v[70:71], v[160:161], v[70:71]
	v_mul_f64 v[160:161], v[192:193], s[16:17]
	v_add_f64 v[100:101], v[100:101], -v[226:227]
	v_mul_f64 v[226:227], v[170:171], s[0:1]
	v_add_f64 v[92:93], v[228:229], v[92:93]
	v_mul_f64 v[228:229], v[192:193], s[28:29]
	v_add_f64 v[98:99], v[98:99], -v[232:233]
	v_mul_f64 v[232:233], v[158:159], s[8:9]
	v_add_f64 v[76:77], v[250:251], v[76:77]
	v_add_f64 v[86:87], v[86:87], -v[240:241]
	v_add_f64 v[20:21], v[20:21], v[28:29]
	v_add_f64 v[22:23], v[22:23], v[30:31]
	;; [unrolled: 1-line block ×3, first 2 shown]
	v_add_f64 v[26:27], v[26:27], -v[190:191]
	v_mul_f64 v[28:29], v[204:205], s[22:23]
	v_mul_f64 v[30:31], v[168:169], s[22:23]
	;; [unrolled: 1-line block ×4, first 2 shown]
	v_fma_f64 v[240:241], v[140:141], s[14:15], v[144:145]
	v_fma_f64 v[144:145], v[140:141], s[14:15], -v[144:145]
	v_add_f64 v[84:85], v[84:85], -v[246:247]
	v_fma_f64 v[246:247], v[174:175], s[22:23], v[178:179]
	v_fma_f64 v[178:179], v[174:175], s[22:23], -v[178:179]
	v_add_f64 v[20:21], v[20:21], v[32:33]
	v_add_f64 v[22:23], v[22:23], v[34:35]
	v_mul_f64 v[32:33], v[204:205], s[28:29]
	v_mul_f64 v[34:35], v[168:169], s[28:29]
	v_add_f64 v[28:29], v[176:177], v[28:29]
	v_add_f64 v[30:31], v[30:31], -v[172:173]
	v_mul_f64 v[172:173], v[152:153], s[28:29]
	v_mul_f64 v[176:177], v[140:141], s[8:9]
	v_add_f64 v[20:21], v[20:21], v[36:37]
	v_add_f64 v[22:23], v[22:23], v[38:39]
	;; [unrolled: 1-line block ×3, first 2 shown]
	v_add_f64 v[34:35], v[34:35], -v[242:243]
	v_mul_f64 v[38:39], v[168:169], s[0:1]
	v_mul_f64 v[36:37], v[204:205], s[0:1]
	v_fma_f64 v[242:243], v[152:153], s[16:17], v[156:157]
	v_fma_f64 v[156:157], v[152:153], s[16:17], -v[156:157]
	v_mul_f64 v[252:253], v[146:147], s[18:19]
	v_add_f64 v[20:21], v[20:21], v[40:41]
	v_mul_f64 v[40:41], v[204:205], s[24:25]
	v_add_f64 v[22:23], v[22:23], v[42:43]
	v_mul_f64 v[42:43], v[168:169], s[24:25]
	v_add_f64 v[38:39], v[38:39], -v[224:225]
	v_mul_f64 v[224:225], v[182:183], s[22:23]
	v_add_f64 v[36:37], v[230:231], v[36:37]
	v_mul_f64 v[230:231], v[174:175], s[16:17]
	v_add_f64 v[20:21], v[20:21], v[44:45]
	v_mul_f64 v[44:45], v[204:205], s[18:19]
	v_add_f64 v[22:23], v[22:23], v[46:47]
	v_mul_f64 v[46:47], v[168:169], s[18:19]
	v_add_f64 v[38:39], v[8:9], v[38:39]
	v_add_f64 v[36:37], v[10:11], v[36:37]
	v_add_f64 v[20:21], v[20:21], v[52:53]
	;; [unrolled: 1-line block ×3, first 2 shown]
	v_mul_f64 v[54:55], v[168:169], s[14:15]
	s_delay_alu instid0(VALU_DEP_3)
	v_add_f64 v[20:21], v[20:21], v[0:1]
	scratch_load_b64 v[0:1], off, off offset:1608 ; 8-byte Folded Reload
	v_add_f64 v[22:23], v[22:23], v[2:3]
	scratch_load_b64 v[2:3], off, off offset:1388 ; 8-byte Folded Reload
	v_add_f64 v[20:21], v[20:21], v[4:5]
	v_mul_f64 v[4:5], v[146:147], s[14:15]
	v_add_f64 v[22:23], v[22:23], v[6:7]
	v_mul_f64 v[6:7], v[164:165], s[22:23]
	s_delay_alu instid0(VALU_DEP_4) | instskip(SKIP_1) | instid1(VALU_DEP_4)
	v_add_f64 v[20:21], v[20:21], v[56:57]
	v_mul_f64 v[56:57], v[188:189], s[18:19]
	v_add_f64 v[22:23], v[22:23], v[58:59]
	v_mul_f64 v[58:59], v[238:239], s[0:1]
	s_delay_alu instid0(VALU_DEP_4) | instskip(SKIP_1) | instid1(VALU_DEP_4)
	v_add_f64 v[20:21], v[20:21], v[48:49]
	v_mul_f64 v[48:49], v[204:205], s[14:15]
	v_add_f64 v[22:23], v[22:23], v[50:51]
	v_mul_f64 v[50:51], v[184:185], s[42:43]
	v_mul_f64 v[184:185], v[202:203], s[14:15]
	v_fma_f64 v[62:63], v[180:181], s[20:21], v[58:59]
	v_add_f64 v[16:17], v[20:21], v[16:17]
	v_mul_f64 v[20:21], v[204:205], s[8:9]
	v_add_f64 v[18:19], v[22:23], v[18:19]
	v_fma_f64 v[52:53], v[168:169], s[8:9], v[50:51]
	v_fma_f64 v[50:51], v[168:169], s[8:9], -v[50:51]
	v_mul_f64 v[168:169], v[158:159], s[14:15]
	v_mul_f64 v[204:205], v[182:183], s[8:9]
	v_fma_f64 v[22:23], v[214:215], s[56:57], v[20:21]
	v_fma_f64 v[20:21], v[214:215], s[42:43], v[20:21]
	v_mul_f64 v[214:215], v[152:153], s[8:9]
	v_add_f64 v[50:51], v[8:9], v[50:51]
	v_add_f64 v[52:53], v[8:9], v[52:53]
	s_delay_alu instid0(VALU_DEP_2) | instskip(NEXT) | instid1(VALU_DEP_2)
	v_add_f64 v[50:51], v[144:145], v[50:51]
	v_add_f64 v[52:53], v[240:241], v[52:53]
	s_delay_alu instid0(VALU_DEP_2)
	v_add_f64 v[50:51], v[156:157], v[50:51]
	s_waitcnt vmcnt(1)
	v_add_f64 v[40:41], v[0:1], v[40:41]
	scratch_load_b64 v[0:1], off, off offset:1592 ; 8-byte Folded Reload
	v_add_f64 v[40:41], v[10:11], v[40:41]
	s_waitcnt vmcnt(0)
	v_add_f64 v[42:43], v[42:43], -v[0:1]
	scratch_load_b64 v[0:1], off, off offset:1452 ; 8-byte Folded Reload
	v_add_f64 v[42:43], v[8:9], v[42:43]
	s_waitcnt vmcnt(0)
	v_add_f64 v[44:45], v[0:1], v[44:45]
	scratch_load_b64 v[0:1], off, off offset:1436 ; 8-byte Folded Reload
	v_add_f64 v[44:45], v[10:11], v[44:45]
	s_waitcnt vmcnt(0)
	v_add_f64 v[46:47], v[46:47], -v[0:1]
	scratch_load_b64 v[0:1], off, off offset:1164 ; 8-byte Folded Reload
	v_add_f64 v[46:47], v[8:9], v[46:47]
	s_waitcnt vmcnt(0)
	v_add_f64 v[48:49], v[0:1], v[48:49]
	scratch_load_b64 v[0:1], off, off offset:1084 ; 8-byte Folded Reload
	s_waitcnt vmcnt(0)
	v_add_f64 v[54:55], v[54:55], -v[0:1]
	v_add_f64 v[0:1], v[10:11], v[22:23]
	v_dual_mov_b32 v22, v132 :: v_dual_mov_b32 v23, v133
	v_dual_mov_b32 v135, v67 :: v_dual_mov_b32 v134, v66
	;; [unrolled: 1-line block ×3, first 2 shown]
	v_mul_f64 v[64:65], v[170:171], s[14:15]
	scratch_store_b64 off, v[0:1], off offset:1664 ; 8-byte Folded Spill
	v_add_f64 v[0:1], v[10:11], v[20:21]
	v_fma_f64 v[20:21], v[236:237], s[36:37], v[64:65]
	v_fma_f64 v[64:65], v[236:237], s[48:49], v[64:65]
	v_mul_f64 v[236:237], v[140:141], s[0:1]
	v_mul_f64 v[140:141], v[140:141], s[18:19]
	scratch_store_b64 off, v[0:1], off offset:1672 ; 8-byte Folded Spill
	v_add_f64 v[0:1], v[10:11], v[24:25]
	v_dual_mov_b32 v24, v220 :: v_dual_mov_b32 v25, v221
	v_mul_f64 v[220:221], v[198:199], s[16:17]
	scratch_store_b64 off, v[0:1], off offset:1680 ; 8-byte Folded Spill
	v_add_f64 v[0:1], v[8:9], v[26:27]
	v_mul_f64 v[26:27], v[128:129], s[22:23]
	scratch_store_b64 off, v[0:1], off offset:1688 ; 8-byte Folded Spill
	v_add_f64 v[0:1], v[10:11], v[28:29]
	v_fma_f64 v[28:29], v[244:245], s[54:55], v[60:61]
	v_fma_f64 v[60:61], v[244:245], s[34:35], v[60:61]
	;; [unrolled: 1-line block ×3, first 2 shown]
	v_fma_f64 v[162:163], v[158:159], s[18:19], -v[162:163]
	v_mul_f64 v[158:159], v[158:159], s[0:1]
	scratch_store_b64 off, v[0:1], off offset:1696 ; 8-byte Folded Spill
	v_add_f64 v[0:1], v[8:9], v[30:31]
	v_mul_f64 v[30:31], v[128:129], s[18:19]
	v_add_f64 v[50:51], v[162:163], v[50:51]
	scratch_store_b64 off, v[0:1], off offset:1704 ; 8-byte Folded Spill
	v_add_f64 v[0:1], v[10:11], v[32:33]
	v_fma_f64 v[32:33], v[248:249], s[38:39], v[56:57]
	v_fma_f64 v[56:57], v[248:249], s[50:51], v[56:57]
	v_mul_f64 v[248:249], v[164:165], s[28:29]
	scratch_store_b64 off, v[0:1], off offset:1712 ; 8-byte Folded Spill
	v_add_f64 v[0:1], v[8:9], v[34:35]
	scratch_load_b64 v[34:35], off, off offset:772 ; 8-byte Folded Reload
	v_fma_f64 v[250:251], v[186:187], s[44:45], v[248:249]
	v_fma_f64 v[186:187], v[186:187], s[26:27], v[248:249]
	v_mul_f64 v[248:249], v[164:165], s[18:19]
	scratch_store_b64 off, v[0:1], off offset:1720 ; 8-byte Folded Spill
	v_add_f64 v[0:1], v[10:11], v[48:49]
	v_mul_f64 v[48:49], v[198:199], s[22:23]
	v_mul_f64 v[198:199], v[198:199], s[28:29]
	v_fma_f64 v[10:11], v[192:193], s[24:25], v[196:197]
	v_fma_f64 v[196:197], v[192:193], s[24:25], -v[196:197]
	v_mul_f64 v[192:193], v[192:193], s[22:23]
	scratch_store_b64 off, v[0:1], off offset:1728 ; 8-byte Folded Spill
	v_add_f64 v[0:1], v[8:9], v[54:55]
	v_add_f64 v[54:55], v[234:235], v[90:91]
	v_mul_f64 v[234:235], v[152:153], s[22:23]
	v_mul_f64 v[152:153], v[152:153], s[24:25]
	v_fma_f64 v[8:9], v[180:181], s[52:53], v[58:59]
	v_mul_f64 v[180:181], v[238:239], s[28:29]
	scratch_store_b64 off, v[0:1], off offset:1736 ; 8-byte Folded Spill
	v_add_f64 v[0:1], v[18:19], v[14:15]
	v_mul_f64 v[14:15], v[164:165], s[0:1]
	v_mul_f64 v[18:19], v[164:165], s[24:25]
	scratch_load_b64 v[144:145], off, off offset:1736 ; 8-byte Folded Reload
	v_add_f64 v[180:181], v[24:25], v[180:181]
	v_mul_f64 v[24:25], v[128:129], s[24:25]
	scratch_store_b64 off, v[0:1], off offset:1084 ; 8-byte Folded Spill
	v_add_f64 v[0:1], v[16:17], v[12:13]
	v_mul_f64 v[16:17], v[202:203], s[24:25]
	v_mul_f64 v[202:203], v[202:203], s[22:23]
	;; [unrolled: 1-line block ×3, first 2 shown]
	scratch_store_b64 off, v[0:1], off offset:1164 ; 8-byte Folded Spill
	v_fma_f64 v[0:1], v[148:149], s[40:41], v[16:17]
	scratch_store_b64 off, v[0:1], off offset:1452 ; 8-byte Folded Spill
	v_fma_f64 v[0:1], v[148:149], s[46:47], v[16:17]
	v_mul_f64 v[148:149], v[182:183], s[28:29]
	v_mul_f64 v[182:183], v[182:183], s[24:25]
	;; [unrolled: 1-line block ×3, first 2 shown]
	scratch_store_b64 off, v[0:1], off offset:1436 ; 8-byte Folded Spill
	v_fma_f64 v[0:1], v[254:255], s[58:59], v[48:49]
	v_fma_f64 v[48:49], v[254:255], s[30:31], v[48:49]
	v_mul_f64 v[254:255], v[164:165], s[8:9]
	scratch_store_b64 off, v[0:1], off offset:1744 ; 8-byte Folded Spill
	v_add_f64 v[0:1], v[166:167], v[68:69]
	v_mul_f64 v[166:167], v[174:175], s[24:25]
	v_mul_f64 v[174:175], v[174:175], s[28:29]
	;; [unrolled: 1-line block ×3, first 2 shown]
	scratch_store_b64 off, v[0:1], off offset:1608 ; 8-byte Folded Spill
	v_add_f64 v[0:1], v[78:79], -v[154:155]
	v_mul_f64 v[154:155], v[170:171], s[8:9]
	v_mul_f64 v[170:171], v[170:171], s[18:19]
	v_mul_f64 v[78:79], v[146:147], s[24:25]
	v_add_f64 v[68:69], v[68:69], -v[22:23]
	v_mul_f64 v[22:23], v[238:239], s[24:25]
	scratch_store_b64 off, v[0:1], off offset:1592 ; 8-byte Folded Spill
	v_add_f64 v[0:1], v[222:223], v[88:89]
	v_mul_f64 v[222:223], v[188:189], s[8:9]
	v_mul_f64 v[188:189], v[188:189], s[0:1]
	scratch_store_b64 off, v[0:1], off offset:1752 ; 8-byte Folded Spill
	scratch_load_b64 v[0:1], off, off offset:1648 ; 8-byte Folded Reload
	s_waitcnt vmcnt(0)
	v_add_f64 v[94:95], v[0:1], v[94:95]
	scratch_load_b64 v[0:1], off, off offset:1632 ; 8-byte Folded Reload
	s_waitcnt vmcnt(0)
	v_add_f64 v[96:97], v[0:1], v[96:97]
	scratch_load_b64 v[0:1], off, off offset:1640 ; 8-byte Folded Reload
	s_waitcnt vmcnt(0)
	v_add_f64 v[102:103], v[102:103], -v[0:1]
	scratch_load_b64 v[0:1], off, off offset:1624 ; 8-byte Folded Reload
	s_waitcnt vmcnt(0)
	v_add_f64 v[104:105], v[104:105], -v[0:1]
	;; [unrolled: 3-line block ×3, first 2 shown]
	scratch_load_b64 v[0:1], off, off offset:1600 ; 8-byte Folded Reload
	s_waitcnt vmcnt(0)
	v_add_f64 v[108:109], v[0:1], v[108:109]
	scratch_load_b64 v[0:1], off, off offset:1584 ; 8-byte Folded Reload
	s_waitcnt vmcnt(0)
	v_add_f64 v[110:111], v[0:1], v[110:111]
	;; [unrolled: 3-line block ×5, first 2 shown]
	scratch_load_b64 v[0:1], off, off offset:1572 ; 8-byte Folded Reload
	s_waitcnt vmcnt(0)
	v_add_f64 v[118:119], v[118:119], -v[0:1]
	scratch_load_b64 v[0:1], off, off offset:1532 ; 8-byte Folded Reload
	s_waitcnt vmcnt(0)
	v_add_f64 v[121:122], v[121:122], -v[0:1]
	;; [unrolled: 3-line block ×5, first 2 shown]
	scratch_load_b64 v[0:1], off, off offset:1404 ; 8-byte Folded Reload
	s_waitcnt vmcnt(0)
	v_add_f64 v[136:137], v[0:1], v[136:137]
	scratch_load_b64 v[0:1], off, off offset:1372 ; 8-byte Folded Reload
	s_waitcnt vmcnt(0)
	v_add_f64 v[138:139], v[0:1], v[138:139]
	;; [unrolled: 3-line block ×5, first 2 shown]
	scratch_load_b64 v[0:1], off, off offset:1356 ; 8-byte Folded Reload
	v_add_f64 v[36:37], v[154:155], v[36:37]
	scratch_load_b64 v[154:155], off, off offset:748 ; 8-byte Folded Reload
	v_add_f64 v[36:37], v[148:149], v[36:37]
	s_delay_alu instid0(VALU_DEP_1) | instskip(NEXT) | instid1(VALU_DEP_1)
	v_add_f64 v[36:37], v[142:143], v[36:37]
	v_add_f64 v[36:37], v[138:139], v[36:37]
	s_delay_alu instid0(VALU_DEP_1)
	v_add_f64 v[36:37], v[136:137], v[36:37]
	s_waitcnt vmcnt(1)
	v_add_f64 v[160:161], v[160:161], -v[0:1]
	scratch_load_b64 v[0:1], off, off offset:1324 ; 8-byte Folded Reload
	s_waitcnt vmcnt(0)
	v_add_f64 v[166:167], v[166:167], -v[0:1]
	scratch_load_b64 v[0:1], off, off offset:1276 ; 8-byte Folded Reload
	;; [unrolled: 3-line block ×5, first 2 shown]
	v_add_f64 v[38:39], v[176:177], v[38:39]
	s_delay_alu instid0(VALU_DEP_1) | instskip(NEXT) | instid1(VALU_DEP_1)
	v_add_f64 v[38:39], v[172:173], v[38:39]
	v_add_f64 v[38:39], v[168:169], v[38:39]
	s_delay_alu instid0(VALU_DEP_1) | instskip(NEXT) | instid1(VALU_DEP_1)
	v_add_f64 v[38:39], v[166:167], v[38:39]
	v_add_f64 v[38:39], v[160:161], v[38:39]
	s_waitcnt vmcnt(0)
	v_add_f64 v[184:185], v[0:1], v[184:185]
	scratch_load_b64 v[0:1], off, off offset:1132 ; 8-byte Folded Reload
	s_waitcnt vmcnt(0)
	v_add_f64 v[190:191], v[0:1], v[190:191]
	scratch_load_b64 v[0:1], off, off offset:1052 ; 8-byte Folded Reload
	;; [unrolled: 3-line block ×5, first 2 shown]
	v_add_f64 v[40:41], v[206:207], v[40:41]
	s_delay_alu instid0(VALU_DEP_1) | instskip(NEXT) | instid1(VALU_DEP_1)
	v_add_f64 v[40:41], v[204:205], v[40:41]
	v_add_f64 v[40:41], v[194:195], v[40:41]
	s_delay_alu instid0(VALU_DEP_1) | instskip(NEXT) | instid1(VALU_DEP_1)
	v_add_f64 v[40:41], v[190:191], v[40:41]
	v_add_f64 v[40:41], v[184:185], v[40:41]
	s_waitcnt vmcnt(0)
	v_add_f64 v[208:209], v[208:209], -v[0:1]
	scratch_load_b64 v[0:1], off, off offset:1036 ; 8-byte Folded Reload
	s_waitcnt vmcnt(0)
	v_add_f64 v[210:211], v[210:211], -v[0:1]
	scratch_load_b64 v[0:1], off, off offset:1004 ; 8-byte Folded Reload
	;; [unrolled: 3-line block ×5, first 2 shown]
	v_add_f64 v[42:43], v[216:217], v[42:43]
	s_delay_alu instid0(VALU_DEP_1) | instskip(NEXT) | instid1(VALU_DEP_1)
	v_add_f64 v[42:43], v[214:215], v[42:43]
	v_add_f64 v[42:43], v[212:213], v[42:43]
	s_delay_alu instid0(VALU_DEP_1) | instskip(NEXT) | instid1(VALU_DEP_1)
	v_add_f64 v[42:43], v[210:211], v[42:43]
	v_add_f64 v[42:43], v[208:209], v[42:43]
	s_waitcnt vmcnt(0)
	v_add_f64 v[218:219], v[0:1], v[218:219]
	scratch_load_b64 v[0:1], off, off offset:916 ; 8-byte Folded Reload
	s_waitcnt vmcnt(0)
	v_add_f64 v[220:221], v[0:1], v[220:221]
	scratch_load_b64 v[0:1], off, off offset:892 ; 8-byte Folded Reload
	;; [unrolled: 3-line block ×5, first 2 shown]
	v_add_f64 v[44:45], v[226:227], v[44:45]
	s_delay_alu instid0(VALU_DEP_1) | instskip(NEXT) | instid1(VALU_DEP_1)
	v_add_f64 v[44:45], v[224:225], v[44:45]
	v_add_f64 v[44:45], v[222:223], v[44:45]
	s_delay_alu instid0(VALU_DEP_1) | instskip(NEXT) | instid1(VALU_DEP_1)
	v_add_f64 v[44:45], v[220:221], v[44:45]
	v_add_f64 v[44:45], v[218:219], v[44:45]
	s_waitcnt vmcnt(0)
	v_add_f64 v[228:229], v[228:229], -v[0:1]
	scratch_load_b64 v[0:1], off, off offset:868 ; 8-byte Folded Reload
	s_waitcnt vmcnt(0)
	v_add_f64 v[230:231], v[230:231], -v[0:1]
	scratch_load_b64 v[0:1], off, off offset:820 ; 8-byte Folded Reload
	;; [unrolled: 3-line block ×5, first 2 shown]
	v_add_f64 v[46:47], v[236:237], v[46:47]
	s_delay_alu instid0(VALU_DEP_1) | instskip(NEXT) | instid1(VALU_DEP_1)
	v_add_f64 v[46:47], v[234:235], v[46:47]
	v_add_f64 v[46:47], v[232:233], v[46:47]
	s_delay_alu instid0(VALU_DEP_1) | instskip(NEXT) | instid1(VALU_DEP_1)
	v_add_f64 v[46:47], v[230:231], v[46:47]
	v_add_f64 v[46:47], v[228:229], v[46:47]
	s_waitcnt vmcnt(0)
	v_add_f64 v[202:203], v[0:1], v[202:203]
	scratch_load_b64 v[0:1], off, off offset:684 ; 8-byte Folded Reload
	s_waitcnt vmcnt(0)
	v_add_f64 v[198:199], v[0:1], v[198:199]
	scratch_load_b64 v[0:1], off, off offset:652 ; 8-byte Folded Reload
	s_waitcnt vmcnt(0)
	v_add_f64 v[188:189], v[0:1], v[188:189]
	scratch_load_b64 v[0:1], off, off offset:636 ; 8-byte Folded Reload
	s_waitcnt vmcnt(0)
	v_add_f64 v[182:183], v[0:1], v[182:183]
	scratch_load_b64 v[0:1], off, off offset:604 ; 8-byte Folded Reload
	s_waitcnt vmcnt(0)
	v_add_f64 v[170:171], v[0:1], v[170:171]
	scratch_load_b64 v[0:1], off, off offset:668 ; 8-byte Folded Reload
	s_waitcnt vmcnt(0)
	v_add_f64 v[192:193], v[192:193], -v[0:1]
	scratch_load_b64 v[0:1], off, off offset:508 ; 8-byte Folded Reload
	s_waitcnt vmcnt(0)
	v_add_f64 v[140:141], v[140:141], -v[0:1]
	scratch_load_b64 v[0:1], off, off offset:540 ; 8-byte Folded Reload
	v_add_f64 v[140:141], v[140:141], v[144:145]
	v_mul_f64 v[144:145], v[128:129], s[16:17]
	s_waitcnt vmcnt(0)
	v_add_f64 v[152:153], v[152:153], -v[0:1]
	scratch_load_b64 v[0:1], off, off offset:556 ; 8-byte Folded Reload
	s_waitcnt vmcnt(0)
	v_add_f64 v[158:159], v[158:159], -v[0:1]
	scratch_load_b64 v[0:1], off, off offset:620 ; 8-byte Folded Reload
	;; [unrolled: 3-line block ×3, first 2 shown]
	s_waitcnt vmcnt(0)
	v_add_f64 v[248:249], v[0:1], v[248:249]
	scratch_load_b64 v[0:1], off, off offset:1548 ; 8-byte Folded Reload
	s_waitcnt vmcnt(0)
	v_add_f64 v[252:253], v[252:253], -v[0:1]
	scratch_load_b64 v[0:1], off, off offset:1420 ; 8-byte Folded Reload
	s_waitcnt vmcnt(0)
	v_add_f64 v[254:255], v[0:1], v[254:255]
	v_mul_f64 v[0:1], v[146:147], s[8:9]
	s_delay_alu instid0(VALU_DEP_1) | instskip(SKIP_4) | instid1(VALU_DEP_2)
	v_add_f64 v[88:89], v[0:1], -v[2:3]
	scratch_load_b64 v[0:1], off, off offset:1196 ; 8-byte Folded Reload
	v_mul_f64 v[2:3], v[164:165], s[14:15]
	v_mul_f64 v[164:165], v[164:165], s[16:17]
	s_waitcnt vmcnt(0)
	v_add_f64 v[90:91], v[0:1], v[2:3]
	s_clause 0x1
	scratch_load_b64 v[0:1], off, off offset:1180
	scratch_load_b64 v[2:3], off, off offset:524
	s_waitcnt vmcnt(1)
	v_add_f64 v[4:5], v[4:5], -v[0:1]
	scratch_load_b64 v[0:1], off, off offset:972 ; 8-byte Folded Reload
	s_waitcnt vmcnt(0)
	v_add_f64 v[6:7], v[0:1], v[6:7]
	scratch_load_b64 v[0:1], off, off offset:956 ; 8-byte Folded Reload
	v_add_f64 v[36:37], v[6:7], v[36:37]
	s_waitcnt vmcnt(0)
	v_add_f64 v[12:13], v[12:13], -v[0:1]
	scratch_load_b64 v[0:1], off, off offset:884 ; 8-byte Folded Reload
	v_add_f64 v[12:13], v[12:13], v[38:39]
	s_waitcnt vmcnt(0)
	v_add_f64 v[14:15], v[0:1], v[14:15]
	scratch_load_b64 v[0:1], off, off offset:852 ; 8-byte Folded Reload
	v_add_f64 v[40:41], v[14:15], v[40:41]
	s_waitcnt vmcnt(0)
	v_add_f64 v[16:17], v[16:17], -v[0:1]
	scratch_load_b64 v[0:1], off, off offset:732 ; 8-byte Folded Reload
	v_add_f64 v[16:17], v[16:17], v[42:43]
	;; [unrolled: 8-line block ×3, first 2 shown]
	s_waitcnt vmcnt(0)
	v_add_f64 v[164:165], v[0:1], v[164:165]
	v_fma_f64 v[0:1], v[146:147], s[28:29], v[150:151]
	v_fma_f64 v[150:151], v[146:147], s[28:29], -v[150:151]
	v_mul_f64 v[146:147], v[146:147], s[16:17]
	s_delay_alu instid0(VALU_DEP_1)
	v_add_f64 v[146:147], v[146:147], -v[2:3]
	scratch_load_b64 v[2:3], off, off offset:1292 ; 8-byte Folded Reload
	s_waitcnt vmcnt(0)
	v_add_f64 v[22:23], v[2:3], v[22:23]
	scratch_load_b64 v[2:3], off, off offset:1260 ; 8-byte Folded Reload
	s_waitcnt vmcnt(0)
	v_add_f64 v[66:67], v[24:25], -v[2:3]
	scratch_load_b64 v[2:3], off, off offset:1116 ; 8-byte Folded Reload
	v_mul_f64 v[24:25], v[238:239], s[22:23]
	s_waitcnt vmcnt(0)
	s_delay_alu instid0(VALU_DEP_1)
	v_add_f64 v[24:25], v[2:3], v[24:25]
	scratch_load_b64 v[2:3], off, off offset:1068 ; 8-byte Folded Reload
	s_waitcnt vmcnt(0)
	v_add_f64 v[58:59], v[26:27], -v[2:3]
	scratch_load_b64 v[2:3], off, off offset:940 ; 8-byte Folded Reload
	v_mul_f64 v[26:27], v[238:239], s[18:19]
	s_waitcnt vmcnt(0)
	s_delay_alu instid0(VALU_DEP_1)
	v_add_f64 v[26:27], v[2:3], v[26:27]
	scratch_load_b64 v[2:3], off, off offset:932 ; 8-byte Folded Reload
	v_add_f64 v[26:27], v[26:27], v[36:37]
	s_waitcnt vmcnt(0)
	v_add_f64 v[2:3], v[30:31], -v[2:3]
	v_mul_f64 v[30:31], v[238:239], s[16:17]
	s_delay_alu instid0(VALU_DEP_1) | instskip(SKIP_3) | instid1(VALU_DEP_1)
	v_add_f64 v[30:31], v[34:35], v[30:31]
	scratch_load_b64 v[34:35], off, off offset:1664 ; 8-byte Folded Reload
	v_add_f64 v[30:31], v[30:31], v[40:41]
	v_mul_u32_u24_e32 v40, 17, v120
	v_lshlrev_b32_e32 v40, 4, v40
	s_waitcnt vmcnt(0)
	v_add_f64 v[20:21], v[20:21], v[34:35]
	scratch_load_b64 v[34:35], off, off offset:1672 ; 8-byte Folded Reload
	v_add_f64 v[20:21], v[28:29], v[20:21]
	v_add_f64 v[28:29], v[242:243], v[52:53]
	s_delay_alu instid0(VALU_DEP_2) | instskip(NEXT) | instid1(VALU_DEP_2)
	v_add_f64 v[20:21], v[32:33], v[20:21]
	v_add_f64 v[28:29], v[244:245], v[28:29]
	s_delay_alu instid0(VALU_DEP_1) | instskip(NEXT) | instid1(VALU_DEP_1)
	v_add_f64 v[28:29], v[246:247], v[28:29]
	v_add_f64 v[28:29], v[10:11], v[28:29]
	scratch_load_b64 v[10:11], off, off offset:1436 ; 8-byte Folded Reload
	v_add_f64 v[28:29], v[0:1], v[28:29]
	s_waitcnt vmcnt(1)
	v_add_f64 v[64:65], v[64:65], v[34:35]
	scratch_load_b64 v[34:35], off, off offset:1680 ; 8-byte Folded Reload
	v_add_f64 v[52:53], v[60:61], v[64:65]
	s_delay_alu instid0(VALU_DEP_1) | instskip(NEXT) | instid1(VALU_DEP_1)
	v_add_f64 v[32:33], v[56:57], v[52:53]
	v_add_f64 v[32:33], v[48:49], v[32:33]
	;; [unrolled: 1-line block ×3, first 2 shown]
	s_delay_alu instid0(VALU_DEP_1) | instskip(SKIP_1) | instid1(VALU_DEP_3)
	v_add_f64 v[48:49], v[196:197], v[48:49]
	s_waitcnt vmcnt(1)
	v_add_f64 v[32:33], v[10:11], v[32:33]
	scratch_load_b64 v[10:11], off, off offset:1608 ; 8-byte Folded Reload
	v_add_f64 v[48:49], v[150:151], v[48:49]
	v_add_f64 v[32:33], v[186:187], v[32:33]
	s_waitcnt vmcnt(1)
	v_add_f64 v[76:77], v[76:77], v[34:35]
	scratch_load_b64 v[34:35], off, off offset:1688 ; 8-byte Folded Reload
	v_add_f64 v[60:61], v[74:75], v[76:77]
	s_delay_alu instid0(VALU_DEP_1) | instskip(NEXT) | instid1(VALU_DEP_1)
	v_add_f64 v[52:53], v[72:73], v[60:61]
	v_add_f64 v[50:51], v[70:71], v[52:53]
	s_waitcnt vmcnt(1)
	s_delay_alu instid0(VALU_DEP_1) | instskip(SKIP_2) | instid1(VALU_DEP_1)
	v_add_f64 v[50:51], v[10:11], v[50:51]
	scratch_load_b64 v[10:11], off, off offset:1752 ; 8-byte Folded Reload
	v_add_f64 v[50:51], v[248:249], v[50:51]
	v_add_f64 v[14:15], v[180:181], v[50:51]
	s_waitcnt vmcnt(1)
	v_add_f64 v[86:87], v[86:87], v[34:35]
	scratch_load_b64 v[34:35], off, off offset:1696 ; 8-byte Folded Reload
	v_add_f64 v[64:65], v[84:85], v[86:87]
	s_delay_alu instid0(VALU_DEP_1) | instskip(SKIP_1) | instid1(VALU_DEP_2)
	v_add_f64 v[56:57], v[82:83], v[64:65]
	v_mul_f64 v[82:83], v[128:129], s[14:15]
	v_add_f64 v[52:53], v[80:81], v[56:57]
	v_mul_f64 v[80:81], v[128:129], s[8:9]
	s_waitcnt vmcnt(0)
	v_add_f64 v[96:97], v[96:97], v[34:35]
	scratch_load_b64 v[34:35], off, off offset:1704 ; 8-byte Folded Reload
	v_add_f64 v[74:75], v[94:95], v[96:97]
	v_add_f64 v[94:95], v[152:153], v[140:141]
	v_mul_f64 v[96:97], v[238:239], s[14:15]
	s_delay_alu instid0(VALU_DEP_3) | instskip(NEXT) | instid1(VALU_DEP_1)
	v_add_f64 v[60:61], v[92:93], v[74:75]
	v_add_f64 v[54:55], v[54:55], v[60:61]
	s_delay_alu instid0(VALU_DEP_1) | instskip(SKIP_2) | instid1(VALU_DEP_1)
	v_add_f64 v[54:55], v[10:11], v[54:55]
	scratch_load_b64 v[10:11], off, off offset:1592 ; 8-byte Folded Reload
	v_add_f64 v[54:55], v[254:255], v[54:55]
	v_add_f64 v[18:19], v[22:23], v[54:55]
	s_waitcnt vmcnt(1)
	v_add_f64 v[106:107], v[106:107], v[34:35]
	scratch_load_b64 v[34:35], off, off offset:1712 ; 8-byte Folded Reload
	v_add_f64 v[76:77], v[104:105], v[106:107]
	scratch_load_b64 v[104:105], off, off offset:588 ; 8-byte Folded Reload
	v_add_f64 v[64:65], v[102:103], v[76:77]
	v_add_f64 v[76:77], v[158:159], v[94:95]
	s_delay_alu instid0(VALU_DEP_2) | instskip(NEXT) | instid1(VALU_DEP_2)
	v_add_f64 v[56:57], v[100:101], v[64:65]
	v_add_f64 v[70:71], v[174:175], v[76:77]
	s_delay_alu instid0(VALU_DEP_2) | instskip(NEXT) | instid1(VALU_DEP_2)
	v_add_f64 v[56:57], v[98:99], v[56:57]
	v_add_f64 v[70:71], v[192:193], v[70:71]
	s_waitcnt vmcnt(2)
	v_add_f64 v[52:53], v[10:11], v[52:53]
	scratch_load_b64 v[10:11], off, off offset:460 ; 8-byte Folded Reload
	v_add_f64 v[42:43], v[88:89], v[56:57]
	v_add_f64 v[52:53], v[252:253], v[52:53]
	s_waitcnt vmcnt(2)
	v_add_f64 v[116:117], v[116:117], v[34:35]
	scratch_load_b64 v[34:35], off, off offset:1720 ; 8-byte Folded Reload
	v_add_f64 v[84:85], v[114:115], v[116:117]
	s_delay_alu instid0(VALU_DEP_1) | instskip(SKIP_4) | instid1(VALU_DEP_2)
	v_add_f64 v[72:73], v[112:113], v[84:85]
	scratch_load_b64 v[84:85], off, off offset:492 ; 8-byte Folded Reload
	v_add_f64 v[144:145], v[144:145], -v[154:155]
	v_add_f64 v[60:61], v[110:111], v[72:73]
	v_mul_f64 v[72:73], v[238:239], s[8:9]
	v_add_f64 v[60:61], v[108:109], v[60:61]
	s_delay_alu instid0(VALU_DEP_1) | instskip(NEXT) | instid1(VALU_DEP_1)
	v_add_f64 v[60:61], v[90:91], v[60:61]
	v_add_f64 v[22:23], v[24:25], v[60:61]
	;; [unrolled: 1-line block ×4, first 2 shown]
	s_waitcnt vmcnt(1)
	v_add_f64 v[34:35], v[130:131], v[34:35]
	scratch_load_b64 v[130:131], off, off offset:1728 ; 8-byte Folded Reload
	v_add_f64 v[34:35], v[125:126], v[34:35]
	s_waitcnt vmcnt(1)
	v_add_f64 v[82:83], v[82:83], -v[84:85]
	scratch_load_b64 v[84:85], off, off offset:1744 ; 8-byte Folded Reload
	v_add_f64 v[34:35], v[123:124], v[34:35]
	s_delay_alu instid0(VALU_DEP_1) | instskip(NEXT) | instid1(VALU_DEP_1)
	v_add_f64 v[34:35], v[121:122], v[34:35]
	v_add_f64 v[34:35], v[118:119], v[34:35]
	s_delay_alu instid0(VALU_DEP_1) | instskip(SKIP_2) | instid1(VALU_DEP_1)
	v_add_f64 v[38:39], v[4:5], v[34:35]
	s_waitcnt vmcnt(1)
	v_add_f64 v[130:131], v[170:171], v[130:131]
	v_add_f64 v[86:87], v[182:183], v[130:131]
	s_delay_alu instid0(VALU_DEP_1) | instskip(SKIP_2) | instid1(VALU_DEP_2)
	v_add_f64 v[74:75], v[188:189], v[86:87]
	s_waitcnt vmcnt(0)
	v_add_f64 v[20:21], v[84:85], v[20:21]
	v_add_f64 v[64:65], v[198:199], v[74:75]
	scratch_load_b64 v[74:75], off, off offset:1656 ; 8-byte Folded Reload
	v_add_f64 v[64:65], v[202:203], v[64:65]
	s_delay_alu instid0(VALU_DEP_1)
	v_add_f64 v[56:57], v[164:165], v[64:65]
	v_add_f64 v[64:65], v[146:147], v[70:71]
	s_waitcnt vmcnt(0)
	v_add_f64 v[72:73], v[74:75], v[72:73]
	scratch_load_b64 v[74:75], off, off offset:1452 ; 8-byte Folded Reload
	s_waitcnt vmcnt(0)
	v_add_f64 v[20:21], v[74:75], v[20:21]
	v_mul_f64 v[74:75], v[10:11], s[52:53]
	s_clause 0x2
	scratch_load_b64 v[10:11], off, off offset:476
	scratch_load_b128 v[4:7], off, off offset:444
	scratch_load_b64 v[0:1], off, off offset:1084
	v_add_f64 v[96:97], v[104:105], v[96:97]
	v_add_f64 v[20:21], v[250:251], v[20:21]
	v_fma_f64 v[76:77], v[128:129], s[0:1], v[74:75]
	v_fma_f64 v[74:75], v[128:129], s[0:1], -v[74:75]
	s_delay_alu instid0(VALU_DEP_4)
	v_add_f64 v[34:35], v[96:97], v[44:45]
	s_waitcnt vmcnt(2)
	v_add_f64 v[80:81], v[80:81], -v[10:11]
	s_waitcnt vmcnt(0)
	v_add_f64 v[70:71], v[0:1], v[6:7]
	scratch_load_b64 v[0:1], off, off offset:1164 ; 8-byte Folded Reload
	v_add_f64 v[10:11], v[8:9], v[32:33]
	v_add_f64 v[32:33], v[82:83], v[46:47]
	;; [unrolled: 1-line block ×8, first 2 shown]
	s_waitcnt vmcnt(0)
	v_add_f64 v[78:79], v[0:1], v[4:5]
	v_add_f64 v[4:5], v[76:77], v[28:29]
	;; [unrolled: 1-line block ×4, first 2 shown]
	scratch_load_b128 v[41:44], off, off offset:100 ; 16-byte Folded Reload
	v_add_f64 v[0:1], v[78:79], v[132:133]
	s_waitcnt vmcnt(0)
	ds_store_b128 v40, v[41:44] offset:160
	scratch_load_b128 v[41:44], off, off offset:84 ; 16-byte Folded Reload
	s_waitcnt vmcnt(0)
	ds_store_b128 v40, v[41:44] offset:176
	scratch_load_b128 v[41:44], off, off offset:68 ; 16-byte Folded Reload
	;; [unrolled: 3-line block ×5, first 2 shown]
	s_waitcnt vmcnt(0)
	ds_store_b128 v40, v[41:44] offset:240
	ds_store_b128 v40, v[32:35] offset:32
	;; [unrolled: 1-line block ×10, first 2 shown]
	ds_store_b128 v40, v[0:3]
	scratch_load_b128 v[0:3], off, off offset:4 ; 16-byte Folded Reload
	s_waitcnt vmcnt(0)
	ds_store_b128 v40, v[0:3] offset:256
.LBB0_7:
	s_or_b32 exec_lo, exec_lo, s33
	scratch_load_b32 v152, off, off         ; 4-byte Folded Reload
	v_and_b32_e32 v0, 0xff, v120
	s_waitcnt vmcnt(0) lgkmcnt(0)
	s_waitcnt_vscnt null, 0x0
	s_barrier
	buffer_gl0_inv
	s_mov_b32 s8, 0xe8584caa
	v_mul_lo_u16 v0, 0xf1, v0
	s_mov_b32 s9, 0x3febb67a
	s_mov_b32 s15, 0xbfebb67a
	s_mov_b32 s14, s8
	s_mov_b32 s30, 0x523c161c
	v_lshrrev_b16 v17, 12, v0
	s_mov_b32 s24, 0xa2cf5039
	s_mov_b32 s31, 0x3fe491b7
	;; [unrolled: 1-line block ×4, first 2 shown]
	v_mul_lo_u16 v0, v17, 17
	s_mov_b32 s0, 0x7e0b738b
	s_mov_b32 s17, 0x3fef838b
	;; [unrolled: 1-line block ×4, first 2 shown]
	v_sub_nc_u16 v0, v120, v0
	s_mov_b32 s19, s9
	s_mov_b32 s22, 0x748a0bf8
	;; [unrolled: 1-line block ×4, first 2 shown]
	v_and_b32_e32 v19, 0xff, v0
	s_mov_b32 s21, 0xbfee11f6
	s_mov_b32 s27, 0xbfe491b7
	s_mov_b32 s26, s30
	s_mov_b32 s28, s18
	s_mov_b32 s29, s15
	v_and_b32_e32 v1, 0xff, v152
	v_add_co_u32 v122, null, 0x66, v152
	v_add_co_u32 v121, null, 0x99, v152
	s_delay_alu instid0(VALU_DEP_3) | instskip(NEXT) | instid1(VALU_DEP_3)
	v_mul_lo_u16 v1, 0xf1, v1
	v_and_b32_e32 v16, 0xff, v122
	v_add_co_u32 v123, null, 0xcc, v152
	v_add_co_u32 v124, null, 0xff, v152
	s_delay_alu instid0(VALU_DEP_4) | instskip(NEXT) | instid1(VALU_DEP_4)
	v_lshrrev_b16 v18, 12, v1
	v_mul_lo_u16 v2, 0xf1, v16
	v_add_co_u32 v125, null, 0x132, v152
	v_add_co_u32 v126, null, 0x165, v152
	s_delay_alu instid0(VALU_DEP_4) | instskip(NEXT) | instid1(VALU_DEP_4)
	v_mul_lo_u16 v1, v18, 17
	v_lshrrev_b16 v21, 12, v2
	v_add_co_u32 v127, null, 0x198, v152
	s_delay_alu instid0(VALU_DEP_3) | instskip(SKIP_1) | instid1(VALU_DEP_4)
	v_sub_nc_u16 v20, v152, v1
	v_lshlrev_b32_e32 v1, 5, v19
	v_mul_lo_u16 v2, v21, 17
	s_delay_alu instid0(VALU_DEP_3)
	v_lshlrev_b16 v0, 1, v20
	s_clause 0x1
	global_load_b128 v[69:72], v1, s[2:3]
	global_load_b128 v[73:76], v1, s[2:3] offset:16
	v_and_b32_e32 v1, 0xff, v121
	v_and_b32_e32 v0, 0xfe, v0
	s_delay_alu instid0(VALU_DEP_1)
	v_lshlrev_b32_e32 v0, 4, v0
	s_clause 0x1
	global_load_b128 v[81:84], v0, s[2:3]
	global_load_b128 v[77:80], v0, s[2:3] offset:16
	v_mul_lo_u16 v0, 0xf1, v1
	v_sub_nc_u16 v1, v122, v2
	s_delay_alu instid0(VALU_DEP_2) | instskip(NEXT) | instid1(VALU_DEP_2)
	v_lshrrev_b16 v22, 12, v0
	v_and_b32_e32 v23, 0xff, v1
	s_delay_alu instid0(VALU_DEP_2) | instskip(NEXT) | instid1(VALU_DEP_2)
	v_mul_lo_u16 v0, v22, 17
	v_lshlrev_b32_e32 v1, 5, v23
	s_delay_alu instid0(VALU_DEP_2)
	v_sub_nc_u16 v0, v121, v0
	s_clause 0x1
	global_load_b128 v[85:88], v1, s[2:3]
	global_load_b128 v[89:92], v1, s[2:3] offset:16
	v_and_b32_e32 v24, 0xff, v0
	v_and_b32_e32 v0, 0xff, v123
	s_delay_alu instid0(VALU_DEP_2) | instskip(NEXT) | instid1(VALU_DEP_2)
	v_lshlrev_b32_e32 v1, 5, v24
	v_mul_lo_u16 v0, 0xf1, v0
	s_clause 0x1
	global_load_b128 v[97:100], v1, s[2:3]
	global_load_b128 v[93:96], v1, s[2:3] offset:16
	v_lshrrev_b16 v25, 12, v0
	s_delay_alu instid0(VALU_DEP_1) | instskip(NEXT) | instid1(VALU_DEP_1)
	v_mul_lo_u16 v0, v25, 17
	v_sub_nc_u16 v0, v123, v0
	s_delay_alu instid0(VALU_DEP_1) | instskip(NEXT) | instid1(VALU_DEP_1)
	v_and_b32_e32 v26, 0xff, v0
	v_lshlrev_b32_e32 v0, 5, v26
	s_clause 0x1
	global_load_b128 v[105:108], v0, s[2:3]
	global_load_b128 v[101:104], v0, s[2:3] offset:16
	ds_load_b128 v[8:11], v200 offset:8160
	ds_load_b128 v[4:7], v200 offset:15504
	ds_load_b128 v[0:3], v200 offset:7344
	ds_load_b128 v[12:15], v200 offset:14688
	ds_load_b128 v[27:30], v200 offset:8976
	ds_load_b128 v[31:34], v200 offset:6528
	ds_load_b128 v[35:38], v200 offset:16320
	ds_load_b128 v[39:42], v200 offset:9792
	ds_load_b128 v[43:46], v200 offset:17136
	s_waitcnt vmcnt(9) lgkmcnt(8)
	v_mul_f64 v[47:48], v[10:11], v[71:72]
	s_waitcnt vmcnt(8) lgkmcnt(7)
	v_mul_f64 v[51:52], v[6:7], v[75:76]
	v_mul_f64 v[53:54], v[4:5], v[75:76]
	;; [unrolled: 1-line block ×3, first 2 shown]
	s_clause 0x1
	scratch_store_b128 off, v[69:72], off offset:476
	scratch_store_b128 off, v[73:76], off offset:492
	s_waitcnt vmcnt(7) lgkmcnt(6)
	v_mul_f64 v[55:56], v[2:3], v[83:84]
	v_mul_f64 v[57:58], v[0:1], v[83:84]
	s_waitcnt vmcnt(6) lgkmcnt(5)
	v_mul_f64 v[61:62], v[12:13], v[79:80]
	v_mul_f64 v[59:60], v[14:15], v[79:80]
	s_clause 0x1
	scratch_store_b128 off, v[81:84], off offset:524
	scratch_store_b128 off, v[77:80], off offset:508
	s_waitcnt vmcnt(5) lgkmcnt(4)
	v_mul_f64 v[63:64], v[29:30], v[87:88]
	s_waitcnt vmcnt(4) lgkmcnt(2)
	v_mul_f64 v[67:68], v[37:38], v[91:92]
	v_mul_f64 v[65:66], v[27:28], v[87:88]
	s_clause 0x1
	scratch_store_b128 off, v[85:88], off offset:540
	scratch_store_b128 off, v[89:92], off offset:556
	v_fma_f64 v[47:48], v[8:9], v[69:70], -v[47:48]
	v_fma_f64 v[51:52], v[4:5], v[73:74], -v[51:52]
	v_fma_f64 v[53:54], v[6:7], v[73:74], v[53:54]
	ds_load_b128 v[4:7], v200 offset:10608
	v_mul_f64 v[8:9], v[35:36], v[91:92]
	v_fma_f64 v[49:50], v[10:11], v[69:70], v[49:50]
	s_waitcnt vmcnt(3) lgkmcnt(2)
	v_mul_f64 v[10:11], v[41:42], v[99:100]
	scratch_store_b128 off, v[97:100], off offset:588 ; 16-byte Folded Spill
	s_waitcnt vmcnt(2)
	scratch_store_b128 off, v[93:96], off offset:572 ; 16-byte Folded Spill
	s_waitcnt lgkmcnt(1)
	v_mul_f64 v[71:72], v[45:46], v[95:96]
	v_mul_f64 v[69:70], v[39:40], v[99:100]
	v_fma_f64 v[55:56], v[0:1], v[81:82], -v[55:56]
	v_fma_f64 v[57:58], v[2:3], v[81:82], v[57:58]
	ds_load_b128 v[0:3], v200 offset:17952
	v_fma_f64 v[61:62], v[14:15], v[77:78], v[61:62]
	v_fma_f64 v[59:60], v[12:13], v[77:78], -v[59:60]
	v_mul_f64 v[12:13], v[43:44], v[95:96]
	v_fma_f64 v[63:64], v[27:28], v[85:86], -v[63:64]
	v_fma_f64 v[67:68], v[35:36], v[89:90], -v[67:68]
	s_waitcnt vmcnt(1) lgkmcnt(1)
	v_mul_f64 v[14:15], v[6:7], v[107:108]
	v_and_b32_e32 v35, 0xffff, v124
	v_fma_f64 v[65:66], v[29:30], v[85:86], v[65:66]
	v_mul_f64 v[27:28], v[4:5], v[107:108]
	s_waitcnt vmcnt(0) lgkmcnt(0)
	v_mul_f64 v[29:30], v[0:1], v[103:104]
	s_clause 0x1
	scratch_store_b128 off, v[105:108], off offset:620
	scratch_store_b128 off, v[101:104], off offset:604
	v_mul_u32_u24_e32 v35, 0xf0f1, v35
	v_fma_f64 v[73:74], v[37:38], v[89:90], v[8:9]
	s_delay_alu instid0(VALU_DEP_2)
	v_lshrrev_b32_e32 v119, 20, v35
	v_fma_f64 v[75:76], v[39:40], v[97:98], -v[10:11]
	ds_load_b128 v[8:11], v200 offset:18768
	v_fma_f64 v[71:72], v[43:44], v[93:94], -v[71:72]
	v_add_f64 v[39:40], v[47:48], -v[51:52]
	v_mul_lo_u16 v35, v119, 17
	v_fma_f64 v[69:70], v[41:42], v[97:98], v[69:70]
	v_add_f64 v[43:44], v[57:58], -v[61:62]
	s_delay_alu instid0(VALU_DEP_3) | instskip(SKIP_3) | instid1(VALU_DEP_4)
	v_sub_nc_u16 v140, v124, v35
	v_fma_f64 v[77:78], v[45:46], v[93:94], v[12:13]
	v_mul_f64 v[12:13], v[2:3], v[103:104]
	v_fma_f64 v[79:80], v[4:5], v[105:106], -v[14:15]
	v_lshlrev_b16 v4, 1, v140
	v_fma_f64 v[81:82], v[6:7], v[105:106], v[27:28]
	v_fma_f64 v[85:86], v[2:3], v[101:102], v[29:30]
	s_delay_alu instid0(VALU_DEP_3) | instskip(NEXT) | instid1(VALU_DEP_1)
	v_and_b32_e32 v4, 0xffff, v4
	v_lshlrev_b32_e32 v4, 4, v4
	s_clause 0x1
	global_load_b128 v[35:38], v4, s[2:3]
	global_load_b128 v[27:30], v4, s[2:3] offset:16
	v_fma_f64 v[83:84], v[0:1], v[101:102], -v[12:13]
	ds_load_b128 v[0:3], v200 offset:11424
	ds_load_b128 v[4:7], v200 offset:12240
	v_add_f64 v[97:98], v[81:82], v[85:86]
	v_add_f64 v[95:96], v[79:80], v[83:84]
	s_waitcnt vmcnt(1) lgkmcnt(1)
	v_mul_f64 v[12:13], v[2:3], v[37:38]
	scratch_store_b128 off, v[35:38], off offset:988 ; 16-byte Folded Spill
	s_waitcnt vmcnt(0)
	scratch_store_b128 off, v[27:30], off offset:972 ; 16-byte Folded Spill
	v_fma_f64 v[87:88], v[0:1], v[35:36], -v[12:13]
	v_mul_f64 v[0:1], v[0:1], v[37:38]
	s_delay_alu instid0(VALU_DEP_1) | instskip(SKIP_1) | instid1(VALU_DEP_1)
	v_fma_f64 v[89:90], v[2:3], v[35:36], v[0:1]
	v_mul_f64 v[0:1], v[10:11], v[29:30]
	v_fma_f64 v[91:92], v[8:9], v[27:28], -v[0:1]
	v_mul_f64 v[0:1], v[8:9], v[29:30]
	s_delay_alu instid0(VALU_DEP_1) | instskip(SKIP_1) | instid1(VALU_DEP_1)
	v_fma_f64 v[93:94], v[10:11], v[27:28], v[0:1]
	v_and_b32_e32 v0, 0xffff, v125
	v_mul_u32_u24_e32 v0, 0xf0f1, v0
	s_delay_alu instid0(VALU_DEP_1) | instskip(NEXT) | instid1(VALU_DEP_1)
	v_lshrrev_b32_e32 v10, 20, v0
	v_mul_lo_u16 v0, v10, 17
	s_delay_alu instid0(VALU_DEP_1) | instskip(NEXT) | instid1(VALU_DEP_1)
	v_sub_nc_u16 v11, v125, v0
	v_lshlrev_b16 v0, 1, v11
	s_delay_alu instid0(VALU_DEP_1) | instskip(NEXT) | instid1(VALU_DEP_1)
	v_and_b32_e32 v0, 0xffff, v0
	v_lshlrev_b32_e32 v0, 4, v0
	s_clause 0x1
	global_load_b128 v[27:30], v0, s[2:3]
	global_load_b128 v[12:15], v0, s[2:3] offset:16
	s_waitcnt vmcnt(1) lgkmcnt(0)
	v_mul_f64 v[0:1], v[6:7], v[29:30]
	scratch_store_b128 off, v[27:30], off offset:1068 ; 16-byte Folded Spill
	v_fma_f64 v[103:104], v[4:5], v[27:28], -v[0:1]
	v_mul_f64 v[0:1], v[4:5], v[29:30]
	s_delay_alu instid0(VALU_DEP_1)
	v_fma_f64 v[105:106], v[6:7], v[27:28], v[0:1]
	ds_load_b128 v[0:3], v200 offset:19584
	ds_load_b128 v[4:7], v200 offset:20400
	s_waitcnt vmcnt(0)
	scratch_store_b128 off, v[12:15], off offset:1036 ; 16-byte Folded Spill
	s_waitcnt lgkmcnt(1)
	v_mul_f64 v[8:9], v[2:3], v[14:15]
	s_delay_alu instid0(VALU_DEP_1) | instskip(SKIP_1) | instid1(VALU_DEP_2)
	v_fma_f64 v[107:108], v[0:1], v[12:13], -v[8:9]
	v_mul_f64 v[0:1], v[0:1], v[14:15]
	v_add_f64 v[136:137], v[103:104], v[107:108]
	s_delay_alu instid0(VALU_DEP_2) | instskip(SKIP_1) | instid1(VALU_DEP_1)
	v_fma_f64 v[109:110], v[2:3], v[12:13], v[0:1]
	v_and_b32_e32 v0, 0xffff, v126
	v_mul_u32_u24_e32 v0, 0xf0f1, v0
	s_delay_alu instid0(VALU_DEP_1) | instskip(NEXT) | instid1(VALU_DEP_1)
	v_lshrrev_b32_e32 v141, 20, v0
	v_mul_lo_u16 v0, v141, 17
	s_delay_alu instid0(VALU_DEP_1) | instskip(NEXT) | instid1(VALU_DEP_1)
	v_sub_nc_u16 v142, v126, v0
	v_lshlrev_b16 v0, 1, v142
	s_delay_alu instid0(VALU_DEP_1) | instskip(NEXT) | instid1(VALU_DEP_1)
	v_and_b32_e32 v0, 0xffff, v0
	v_lshlrev_b32_e32 v0, 4, v0
	s_clause 0x1
	global_load_b128 v[35:38], v0, s[2:3]
	global_load_b128 v[27:30], v0, s[2:3] offset:16
	ds_load_b128 v[0:3], v200 offset:13056
	ds_load_b128 v[12:15], v200 offset:13872
	v_add_f64 v[138:139], v[105:106], v[109:110]
	s_waitcnt vmcnt(1) lgkmcnt(1)
	v_mul_f64 v[8:9], v[2:3], v[37:38]
	scratch_store_b128 off, v[35:38], off offset:1132 ; 16-byte Folded Spill
	s_waitcnt vmcnt(0)
	scratch_store_b128 off, v[27:30], off offset:1100 ; 16-byte Folded Spill
	v_fma_f64 v[111:112], v[0:1], v[35:36], -v[8:9]
	v_mul_f64 v[0:1], v[0:1], v[37:38]
	s_delay_alu instid0(VALU_DEP_1) | instskip(SKIP_2) | instid1(VALU_DEP_2)
	v_fma_f64 v[113:114], v[2:3], v[35:36], v[0:1]
	v_mul_f64 v[0:1], v[6:7], v[29:30]
	v_add_f64 v[35:36], v[49:50], -v[53:54]
	v_fma_f64 v[115:116], v[4:5], v[27:28], -v[0:1]
	v_mul_f64 v[0:1], v[4:5], v[29:30]
	s_delay_alu instid0(VALU_DEP_1) | instskip(SKIP_1) | instid1(VALU_DEP_1)
	v_fma_f64 v[117:118], v[6:7], v[27:28], v[0:1]
	v_and_b32_e32 v0, 0xffff, v127
	v_mul_u32_u24_e32 v0, 0xf0f1, v0
	s_delay_alu instid0(VALU_DEP_1) | instskip(NEXT) | instid1(VALU_DEP_1)
	v_lshrrev_b32_e32 v4, 20, v0
	v_mul_lo_u16 v0, v4, 17
	s_delay_alu instid0(VALU_DEP_1) | instskip(NEXT) | instid1(VALU_DEP_1)
	v_sub_nc_u16 v5, v127, v0
	v_lshlrev_b16 v0, 1, v5
	s_delay_alu instid0(VALU_DEP_1) | instskip(NEXT) | instid1(VALU_DEP_1)
	v_and_b32_e32 v0, 0xffff, v0
	v_lshlrev_b32_e32 v0, 4, v0
	s_clause 0x1
	global_load_b128 v[27:30], v0, s[2:3]
	global_load_b128 v[6:9], v0, s[2:3] offset:16
	s_waitcnt vmcnt(1) lgkmcnt(0)
	v_mul_f64 v[0:1], v[14:15], v[29:30]
	scratch_store_b128 off, v[27:30], off offset:1196 ; 16-byte Folded Spill
	s_waitcnt vmcnt(0)
	scratch_store_b128 off, v[6:9], off offset:1180 ; 16-byte Folded Spill
	v_fma_f64 v[128:129], v[12:13], v[27:28], -v[0:1]
	v_mul_f64 v[0:1], v[12:13], v[29:30]
	s_delay_alu instid0(VALU_DEP_1) | instskip(SKIP_4) | instid1(VALU_DEP_1)
	v_fma_f64 v[130:131], v[14:15], v[27:28], v[0:1]
	ds_load_b128 v[0:3], v200 offset:21216
	v_add_f64 v[27:28], v[47:48], v[51:52]
	s_waitcnt lgkmcnt(0)
	v_mul_f64 v[12:13], v[2:3], v[8:9]
	v_fma_f64 v[132:133], v[0:1], v[6:7], -v[12:13]
	v_mul_f64 v[0:1], v[0:1], v[8:9]
	s_delay_alu instid0(VALU_DEP_1) | instskip(SKIP_3) | instid1(VALU_DEP_1)
	v_fma_f64 v[134:135], v[2:3], v[6:7], v[0:1]
	ds_load_b128 v[0:3], v200 offset:816
	ds_load_b128 v[12:15], v200
	v_mad_u16 v6, v18, 51, v20
	v_and_b32_e32 v6, 0xff, v6
	s_delay_alu instid0(VALU_DEP_1)
	v_lshlrev_b32_e32 v6, 4, v6
	s_waitcnt lgkmcnt(1)
	v_fma_f64 v[29:30], v[27:28], -0.5, v[0:1]
	v_add_f64 v[27:28], v[49:50], v[53:54]
	v_add_f64 v[0:1], v[0:1], v[47:48]
	v_add_f64 v[47:48], v[55:56], -v[59:60]
	s_delay_alu instid0(VALU_DEP_3)
	v_fma_f64 v[37:38], v[27:28], -0.5, v[2:3]
	v_fma_f64 v[27:28], v[35:36], s[8:9], v[29:30]
	v_fma_f64 v[35:36], v[35:36], s[14:15], v[29:30]
	v_add_f64 v[2:3], v[2:3], v[49:50]
	v_add_f64 v[0:1], v[0:1], v[51:52]
	v_fma_f64 v[29:30], v[39:40], s[14:15], v[37:38]
	v_fma_f64 v[37:38], v[39:40], s[8:9], v[37:38]
	v_add_f64 v[39:40], v[55:56], v[59:60]
	v_add_f64 v[2:3], v[2:3], v[53:54]
	s_waitcnt lgkmcnt(0)
	s_delay_alu instid0(VALU_DEP_2) | instskip(SKIP_3) | instid1(VALU_DEP_3)
	v_fma_f64 v[41:42], v[39:40], -0.5, v[12:13]
	v_add_f64 v[39:40], v[57:58], v[61:62]
	v_add_f64 v[12:13], v[12:13], v[55:56]
	;; [unrolled: 1-line block ×3, first 2 shown]
	v_fma_f64 v[45:46], v[39:40], -0.5, v[14:15]
	v_fma_f64 v[39:40], v[43:44], s[8:9], v[41:42]
	v_fma_f64 v[43:44], v[43:44], s[14:15], v[41:42]
	v_add_f64 v[14:15], v[14:15], v[57:58]
	v_add_f64 v[12:13], v[12:13], v[59:60]
	v_add_f64 v[59:60], v[65:66], -v[73:74]
	v_fma_f64 v[41:42], v[47:48], s[14:15], v[45:46]
	v_fma_f64 v[45:46], v[47:48], s[8:9], v[45:46]
	ds_load_b128 v[47:50], v200 offset:1632
	ds_load_b128 v[51:54], v200 offset:2448
	v_add_f64 v[14:15], v[14:15], v[61:62]
	s_waitcnt lgkmcnt(1)
	v_fma_f64 v[57:58], v[55:56], -0.5, v[47:48]
	v_add_f64 v[55:56], v[65:66], v[73:74]
	v_add_f64 v[47:48], v[47:48], v[63:64]
	v_add_f64 v[63:64], v[63:64], -v[67:68]
	s_delay_alu instid0(VALU_DEP_3)
	v_fma_f64 v[61:62], v[55:56], -0.5, v[49:50]
	v_fma_f64 v[55:56], v[59:60], s[8:9], v[57:58]
	v_fma_f64 v[59:60], v[59:60], s[14:15], v[57:58]
	v_add_f64 v[49:50], v[49:50], v[65:66]
	v_add_f64 v[47:48], v[47:48], v[67:68]
	v_add_f64 v[67:68], v[69:70], -v[77:78]
	v_fma_f64 v[57:58], v[63:64], s[14:15], v[61:62]
	v_fma_f64 v[61:62], v[63:64], s[8:9], v[61:62]
	v_add_f64 v[63:64], v[75:76], v[71:72]
	v_add_f64 v[49:50], v[49:50], v[73:74]
	s_waitcnt lgkmcnt(0)
	s_delay_alu instid0(VALU_DEP_2) | instskip(SKIP_2) | instid1(VALU_DEP_2)
	v_fma_f64 v[65:66], v[63:64], -0.5, v[51:52]
	v_add_f64 v[63:64], v[69:70], v[77:78]
	v_add_f64 v[51:52], v[51:52], v[75:76]
	v_fma_f64 v[73:74], v[63:64], -0.5, v[53:54]
	v_add_f64 v[53:54], v[53:54], v[69:70]
	v_add_f64 v[69:70], v[75:76], -v[71:72]
	s_delay_alu instid0(VALU_DEP_4)
	v_add_f64 v[51:52], v[51:52], v[71:72]
	v_fma_f64 v[63:64], v[67:68], s[8:9], v[65:66]
	v_fma_f64 v[67:68], v[67:68], s[14:15], v[65:66]
	v_add_f64 v[53:54], v[53:54], v[77:78]
	v_fma_f64 v[65:66], v[69:70], s[14:15], v[73:74]
	v_fma_f64 v[69:70], v[69:70], s[8:9], v[73:74]
	ds_load_b128 v[71:74], v200 offset:3264
	ds_load_b128 v[75:78], v200 offset:4080
	s_waitcnt lgkmcnt(1)
	v_fma_f64 v[97:98], v[97:98], -0.5, v[73:74]
	v_add_f64 v[73:74], v[73:74], v[81:82]
	v_fma_f64 v[95:96], v[95:96], -0.5, v[71:72]
	v_add_f64 v[71:72], v[71:72], v[79:80]
	v_add_f64 v[81:82], v[81:82], -v[85:86]
	s_delay_alu instid0(VALU_DEP_4) | instskip(SKIP_1) | instid1(VALU_DEP_4)
	v_add_f64 v[73:74], v[73:74], v[85:86]
	v_add_f64 v[85:86], v[79:80], -v[83:84]
	v_add_f64 v[71:72], v[71:72], v[83:84]
	s_delay_alu instid0(VALU_DEP_4)
	v_fma_f64 v[79:80], v[81:82], s[8:9], v[95:96]
	v_fma_f64 v[83:84], v[81:82], s[14:15], v[95:96]
	v_add_f64 v[95:96], v[87:88], v[91:92]
	v_fma_f64 v[81:82], v[85:86], s[14:15], v[97:98]
	v_fma_f64 v[85:86], v[85:86], s[8:9], v[97:98]
	v_add_f64 v[97:98], v[89:90], v[93:94]
	s_waitcnt lgkmcnt(0)
	s_delay_alu instid0(VALU_DEP_4) | instskip(SKIP_1) | instid1(VALU_DEP_3)
	v_fma_f64 v[95:96], v[95:96], -0.5, v[75:76]
	v_add_f64 v[75:76], v[75:76], v[87:88]
	v_fma_f64 v[97:98], v[97:98], -0.5, v[77:78]
	v_add_f64 v[77:78], v[77:78], v[89:90]
	v_add_f64 v[89:90], v[89:90], -v[93:94]
	s_delay_alu instid0(VALU_DEP_4) | instskip(NEXT) | instid1(VALU_DEP_3)
	v_add_f64 v[75:76], v[75:76], v[91:92]
	v_add_f64 v[77:78], v[77:78], v[93:94]
	v_add_f64 v[93:94], v[87:88], -v[91:92]
	s_delay_alu instid0(VALU_DEP_4) | instskip(SKIP_1) | instid1(VALU_DEP_3)
	v_fma_f64 v[87:88], v[89:90], s[8:9], v[95:96]
	v_fma_f64 v[91:92], v[89:90], s[14:15], v[95:96]
	;; [unrolled: 1-line block ×4, first 2 shown]
	ds_load_b128 v[95:98], v200 offset:4896
	ds_load_b128 v[99:102], v200 offset:5712
	s_waitcnt lgkmcnt(0)
	s_waitcnt_vscnt null, 0x0
	s_barrier
	buffer_gl0_inv
	ds_store_b128 v6, v[12:15]
	ds_store_b128 v6, v[39:42] offset:272
	scratch_store_b32 off, v6, off offset:956 ; 4-byte Folded Spill
	ds_store_b128 v6, v[43:46] offset:544
	v_and_b32_e32 v6, 0xffff, v17
	v_lshlrev_b32_e32 v17, 7, v152
	s_delay_alu instid0(VALU_DEP_2) | instskip(NEXT) | instid1(VALU_DEP_1)
	v_mul_u32_u24_e32 v6, 51, v6
	v_add_lshl_u32 v6, v6, v19, 4
	ds_store_b128 v6, v[0:3]
	ds_store_b128 v6, v[27:30] offset:272
	v_fma_f64 v[138:139], v[138:139], -0.5, v[97:98]
	v_add_f64 v[97:98], v[97:98], v[105:106]
	v_fma_f64 v[136:137], v[136:137], -0.5, v[95:96]
	v_add_f64 v[95:96], v[95:96], v[103:104]
	v_add_f64 v[105:106], v[105:106], -v[109:110]
	v_and_b32_e32 v0, 0xffff, v21
	scratch_store_b32 off, v6, off offset:948 ; 4-byte Folded Spill
	ds_store_b128 v6, v[35:38] offset:544
	v_mad_u16 v1, v4, 51, v5
	v_mul_u32_u24_e32 v0, 51, v0
	s_delay_alu instid0(VALU_DEP_2) | instskip(NEXT) | instid1(VALU_DEP_2)
	v_and_b32_e32 v1, 0xffff, v1
	v_add_lshl_u32 v0, v0, v23, 4
	ds_store_b128 v0, v[47:50]
	ds_store_b128 v0, v[55:58] offset:272
	scratch_store_b32 off, v0, off offset:940 ; 4-byte Folded Spill
	ds_store_b128 v0, v[59:62] offset:544
	v_and_b32_e32 v0, 0xffff, v22
	s_delay_alu instid0(VALU_DEP_1) | instskip(NEXT) | instid1(VALU_DEP_1)
	v_mul_u32_u24_e32 v0, 51, v0
	v_add_lshl_u32 v0, v0, v24, 4
	ds_store_b128 v0, v[51:54]
	ds_store_b128 v0, v[63:66] offset:272
	v_add_f64 v[97:98], v[97:98], v[109:110]
	v_add_f64 v[109:110], v[103:104], -v[107:108]
	v_add_f64 v[95:96], v[95:96], v[107:108]
	v_fma_f64 v[103:104], v[105:106], s[8:9], v[136:137]
	v_fma_f64 v[107:108], v[105:106], s[14:15], v[136:137]
	v_add_f64 v[136:137], v[111:112], v[115:116]
	scratch_store_b32 off, v0, off offset:932 ; 4-byte Folded Spill
	ds_store_b128 v0, v[67:70] offset:544
	v_and_b32_e32 v0, 0xffff, v25
	s_delay_alu instid0(VALU_DEP_1) | instskip(NEXT) | instid1(VALU_DEP_1)
	v_mul_u32_u24_e32 v0, 51, v0
	v_add_lshl_u32 v0, v0, v26, 4
	ds_store_b128 v0, v[71:74]
	ds_store_b128 v0, v[79:82] offset:272
	scratch_store_b32 off, v0, off offset:924 ; 4-byte Folded Spill
	ds_store_b128 v0, v[83:86] offset:544
	v_mad_u16 v0, v119, 51, v140
	s_delay_alu instid0(VALU_DEP_1) | instskip(NEXT) | instid1(VALU_DEP_1)
	v_and_b32_e32 v0, 0xffff, v0
	v_lshlrev_b32_e32 v0, 4, v0
	ds_store_b128 v0, v[75:78]
	ds_store_b128 v0, v[87:90] offset:272
	v_fma_f64 v[105:106], v[109:110], s[14:15], v[138:139]
	v_fma_f64 v[109:110], v[109:110], s[8:9], v[138:139]
	v_add_f64 v[138:139], v[113:114], v[117:118]
	v_fma_f64 v[136:137], v[136:137], -0.5, v[99:100]
	v_add_f64 v[99:100], v[99:100], v[111:112]
	scratch_store_b32 off, v0, off offset:916 ; 4-byte Folded Spill
	ds_store_b128 v0, v[91:94] offset:544
	v_mad_u16 v0, v10, 51, v11
	s_delay_alu instid0(VALU_DEP_1) | instskip(NEXT) | instid1(VALU_DEP_1)
	v_and_b32_e32 v0, 0xffff, v0
	v_lshlrev_b32_e32 v0, 4, v0
	ds_store_b128 v0, v[95:98]
	ds_store_b128 v0, v[103:106] offset:272
	scratch_store_b32 off, v0, off offset:908 ; 4-byte Folded Spill
	ds_store_b128 v0, v[107:110] offset:544
	v_fma_f64 v[138:139], v[138:139], -0.5, v[101:102]
	v_add_f64 v[101:102], v[101:102], v[113:114]
	v_add_f64 v[113:114], v[113:114], -v[117:118]
	v_add_f64 v[99:100], v[99:100], v[115:116]
	v_mad_u16 v0, v141, 51, v142
	s_delay_alu instid0(VALU_DEP_1) | instskip(NEXT) | instid1(VALU_DEP_1)
	v_and_b32_e32 v0, 0xffff, v0
	v_lshlrev_b32_e32 v2, 4, v0
	v_lshlrev_b32_e32 v0, 4, v1
	scratch_store_b32 off, v2, off offset:884 ; 4-byte Folded Spill
	v_add_f64 v[101:102], v[101:102], v[117:118]
	v_add_f64 v[117:118], v[111:112], -v[115:116]
	v_fma_f64 v[111:112], v[113:114], s[8:9], v[136:137]
	v_fma_f64 v[115:116], v[113:114], s[14:15], v[136:137]
	v_add_f64 v[136:137], v[128:129], v[132:133]
	s_delay_alu instid0(VALU_DEP_4) | instskip(SKIP_2) | instid1(VALU_DEP_4)
	v_fma_f64 v[113:114], v[117:118], s[14:15], v[138:139]
	v_fma_f64 v[117:118], v[117:118], s[8:9], v[138:139]
	v_add_f64 v[138:139], v[130:131], v[134:135]
	v_fma_f64 v[136:137], v[136:137], -0.5, v[31:32]
	v_add_f64 v[31:32], v[31:32], v[128:129]
	ds_store_b128 v2, v[99:102]
	ds_store_b128 v2, v[111:114] offset:272
	v_fma_f64 v[138:139], v[138:139], -0.5, v[33:34]
	v_add_f64 v[33:34], v[33:34], v[130:131]
	v_add_f64 v[130:131], v[130:131], -v[134:135]
	v_add_f64 v[31:32], v[31:32], v[132:133]
	s_delay_alu instid0(VALU_DEP_3) | instskip(SKIP_1) | instid1(VALU_DEP_4)
	v_add_f64 v[33:34], v[33:34], v[134:135]
	v_add_f64 v[134:135], v[128:129], -v[132:133]
	v_fma_f64 v[128:129], v[130:131], s[8:9], v[136:137]
	v_fma_f64 v[132:133], v[130:131], s[14:15], v[136:137]
	s_delay_alu instid0(VALU_DEP_3)
	v_fma_f64 v[130:131], v[134:135], s[14:15], v[138:139]
	v_fma_f64 v[134:135], v[134:135], s[8:9], v[138:139]
	ds_store_b128 v2, v[115:118] offset:544
	ds_store_b128 v0, v[31:34]
	ds_store_b128 v0, v[128:131] offset:272
	scratch_store_b32 off, v0, off offset:764 ; 4-byte Folded Spill
	ds_store_b128 v0, v[132:135] offset:544
	s_waitcnt lgkmcnt(0)
	s_waitcnt_vscnt null, 0x0
	s_barrier
	buffer_gl0_inv
	s_clause 0x1
	global_load_b128 v[8:11], v17, s[2:3] offset:544
	global_load_b128 v[4:7], v17, s[2:3] offset:560
	ds_load_b128 v[0:3], v200 offset:2448
	ds_load_b128 v[12:15], v200 offset:1632
	s_waitcnt vmcnt(1) lgkmcnt(1)
	v_mul_f64 v[18:19], v[2:3], v[10:11]
	v_mul_f64 v[20:21], v[0:1], v[10:11]
	s_delay_alu instid0(VALU_DEP_2) | instskip(NEXT) | instid1(VALU_DEP_2)
	v_fma_f64 v[64:65], v[0:1], v[8:9], -v[18:19]
	v_fma_f64 v[118:119], v[2:3], v[8:9], v[20:21]
	ds_load_b128 v[0:3], v200 offset:4896
	ds_load_b128 v[18:21], v200 offset:5712
	s_clause 0x1
	global_load_b128 v[44:47], v17, s[2:3] offset:576
	global_load_b128 v[48:51], v17, s[2:3] offset:592
	s_waitcnt vmcnt(2) lgkmcnt(1)
	v_mul_f64 v[22:23], v[2:3], v[6:7]
	s_delay_alu instid0(VALU_DEP_1) | instskip(SKIP_1) | instid1(VALU_DEP_1)
	v_fma_f64 v[133:134], v[0:1], v[4:5], -v[22:23]
	v_mul_f64 v[0:1], v[0:1], v[6:7]
	v_fma_f64 v[135:136], v[2:3], v[4:5], v[0:1]
	ds_load_b128 v[0:3], v200 offset:7344
	ds_load_b128 v[26:29], v200 offset:6528
	s_waitcnt vmcnt(1) lgkmcnt(1)
	v_mul_f64 v[22:23], v[2:3], v[46:47]
	s_delay_alu instid0(VALU_DEP_1) | instskip(SKIP_1) | instid1(VALU_DEP_1)
	v_fma_f64 v[90:91], v[0:1], v[44:45], -v[22:23]
	v_mul_f64 v[0:1], v[0:1], v[46:47]
	v_fma_f64 v[92:93], v[2:3], v[44:45], v[0:1]
	ds_load_b128 v[0:3], v200 offset:9792
	ds_load_b128 v[22:25], v200 offset:10608
	s_clause 0x1
	global_load_b128 v[100:103], v17, s[2:3] offset:608
	global_load_b128 v[80:83], v17, s[2:3] offset:624
	s_waitcnt vmcnt(2) lgkmcnt(1)
	v_mul_f64 v[30:31], v[2:3], v[50:51]
	s_delay_alu instid0(VALU_DEP_1) | instskip(SKIP_1) | instid1(VALU_DEP_1)
	v_fma_f64 v[94:95], v[0:1], v[48:49], -v[30:31]
	v_mul_f64 v[0:1], v[0:1], v[50:51]
	v_fma_f64 v[108:109], v[2:3], v[48:49], v[0:1]
	ds_load_b128 v[0:3], v200 offset:12240
	ds_load_b128 v[30:33], v200 offset:11424
	s_waitcnt vmcnt(1) lgkmcnt(1)
	v_mul_f64 v[34:35], v[2:3], v[102:103]
	s_delay_alu instid0(VALU_DEP_1) | instskip(SKIP_1) | instid1(VALU_DEP_1)
	v_fma_f64 v[104:105], v[0:1], v[100:101], -v[34:35]
	v_mul_f64 v[0:1], v[0:1], v[102:103]
	v_fma_f64 v[112:113], v[2:3], v[100:101], v[0:1]
	ds_load_b128 v[0:3], v200 offset:14688
	ds_load_b128 v[34:37], v200 offset:15504
	s_clause 0x1
	global_load_b128 v[84:87], v17, s[2:3] offset:640
	global_load_b128 v[96:99], v17, s[2:3] offset:656
	s_waitcnt vmcnt(2) lgkmcnt(1)
	v_mul_f64 v[38:39], v[2:3], v[82:83]
	s_delay_alu instid0(VALU_DEP_1) | instskip(SKIP_1) | instid1(VALU_DEP_1)
	v_fma_f64 v[106:107], v[0:1], v[80:81], -v[38:39]
	v_mul_f64 v[0:1], v[0:1], v[82:83]
	v_fma_f64 v[110:111], v[2:3], v[80:81], v[0:1]
	ds_load_b128 v[0:3], v200 offset:17136
	ds_load_b128 v[38:41], v200 offset:16320
	v_add_f64 v[145:146], v[92:93], -v[110:111]
	s_waitcnt vmcnt(1) lgkmcnt(1)
	v_mul_f64 v[42:43], v[2:3], v[86:87]
	s_delay_alu instid0(VALU_DEP_1) | instskip(SKIP_1) | instid1(VALU_DEP_1)
	v_fma_f64 v[137:138], v[0:1], v[84:85], -v[42:43]
	v_mul_f64 v[0:1], v[0:1], v[86:87]
	v_fma_f64 v[139:140], v[2:3], v[84:85], v[0:1]
	ds_load_b128 v[0:3], v200 offset:19584
	ds_load_b128 v[52:55], v200 offset:20400
	s_waitcnt vmcnt(0) lgkmcnt(1)
	v_mul_f64 v[42:43], v[2:3], v[98:99]
	s_delay_alu instid0(VALU_DEP_1) | instskip(SKIP_1) | instid1(VALU_DEP_1)
	v_fma_f64 v[141:142], v[0:1], v[96:97], -v[42:43]
	v_mul_f64 v[0:1], v[0:1], v[98:99]
	v_fma_f64 v[143:144], v[2:3], v[96:97], v[0:1]
	ds_load_b128 v[0:3], v200 offset:3264
	ds_load_b128 v[56:59], v200 offset:4080
	s_clause 0x1
	scratch_store_b128 off, v[8:11], off offset:460
	scratch_store_b128 off, v[4:7], off offset:444
	s_waitcnt lgkmcnt(1)
	v_mul_f64 v[42:43], v[2:3], v[10:11]
	s_delay_alu instid0(VALU_DEP_1) | instskip(SKIP_1) | instid1(VALU_DEP_1)
	v_fma_f64 v[66:67], v[0:1], v[8:9], -v[42:43]
	v_mul_f64 v[0:1], v[0:1], v[10:11]
	v_fma_f64 v[68:69], v[2:3], v[8:9], v[0:1]
	v_mul_f64 v[0:1], v[20:21], v[6:7]
	s_delay_alu instid0(VALU_DEP_1) | instskip(SKIP_1) | instid1(VALU_DEP_1)
	v_fma_f64 v[70:71], v[18:19], v[4:5], -v[0:1]
	v_mul_f64 v[0:1], v[18:19], v[6:7]
	v_fma_f64 v[72:73], v[20:21], v[4:5], v[0:1]
	ds_load_b128 v[0:3], v200 offset:8160
	ds_load_b128 v[60:63], v200 offset:8976
	s_clause 0x1
	scratch_store_b128 off, v[44:47], off offset:748
	scratch_store_b128 off, v[48:51], off offset:716
	s_waitcnt lgkmcnt(1)
	v_mul_f64 v[17:18], v[2:3], v[46:47]
	s_delay_alu instid0(VALU_DEP_1) | instskip(SKIP_1) | instid1(VALU_DEP_1)
	v_fma_f64 v[74:75], v[0:1], v[44:45], -v[17:18]
	v_mul_f64 v[0:1], v[0:1], v[46:47]
	v_fma_f64 v[76:77], v[2:3], v[44:45], v[0:1]
	v_mul_f64 v[0:1], v[24:25], v[50:51]
	s_delay_alu instid0(VALU_DEP_1) | instskip(SKIP_1) | instid1(VALU_DEP_1)
	v_fma_f64 v[46:47], v[22:23], v[48:49], -v[0:1]
	v_mul_f64 v[0:1], v[22:23], v[50:51]
	v_fma_f64 v[44:45], v[24:25], v[48:49], v[0:1]
	ds_load_b128 v[0:3], v200 offset:13056
	ds_load_b128 v[114:117], v200 offset:13872
	s_clause 0x1
	scratch_store_b128 off, v[100:103], off offset:732
	scratch_store_b128 off, v[80:83], off offset:684
	s_waitcnt lgkmcnt(1)
	v_mul_f64 v[17:18], v[2:3], v[102:103]
	s_delay_alu instid0(VALU_DEP_1) | instskip(SKIP_1) | instid1(VALU_DEP_2)
	v_fma_f64 v[48:49], v[0:1], v[100:101], -v[17:18]
	v_mul_f64 v[0:1], v[0:1], v[102:103]
	v_add_f64 v[178:179], v[46:47], v[48:49]
	s_delay_alu instid0(VALU_DEP_2) | instskip(SKIP_2) | instid1(VALU_DEP_3)
	v_fma_f64 v[50:51], v[2:3], v[100:101], v[0:1]
	v_mul_f64 v[0:1], v[36:37], v[82:83]
	v_add_f64 v[184:185], v[46:47], -v[48:49]
	v_add_f64 v[180:181], v[44:45], v[50:51]
	s_delay_alu instid0(VALU_DEP_3) | instskip(SKIP_3) | instid1(VALU_DEP_3)
	v_fma_f64 v[78:79], v[34:35], v[80:81], -v[0:1]
	v_mul_f64 v[0:1], v[34:35], v[82:83]
	v_add_f64 v[182:183], v[44:45], -v[50:51]
	v_mul_f64 v[188:189], v[184:185], s[26:27]
	v_fma_f64 v[80:81], v[36:37], v[80:81], v[0:1]
	ds_load_b128 v[0:3], v200 offset:17952
	ds_load_b128 v[129:132], v200 offset:18768
	s_clause 0x1
	scratch_store_b128 off, v[84:87], off offset:700
	scratch_store_b128 off, v[96:99], off offset:668
	v_mul_f64 v[186:187], v[182:183], s[26:27]
	s_waitcnt lgkmcnt(1)
	v_mul_f64 v[17:18], v[2:3], v[86:87]
	s_delay_alu instid0(VALU_DEP_1) | instskip(SKIP_1) | instid1(VALU_DEP_1)
	v_fma_f64 v[82:83], v[0:1], v[84:85], -v[17:18]
	v_mul_f64 v[0:1], v[0:1], v[86:87]
	v_fma_f64 v[84:85], v[2:3], v[84:85], v[0:1]
	v_mul_f64 v[0:1], v[54:55], v[98:99]
	s_delay_alu instid0(VALU_DEP_1) | instskip(SKIP_1) | instid1(VALU_DEP_1)
	v_fma_f64 v[86:87], v[52:53], v[96:97], -v[0:1]
	v_mul_f64 v[0:1], v[52:53], v[98:99]
	v_fma_f64 v[88:89], v[54:55], v[96:97], v[0:1]
	v_mul_lo_u16 v0, 0xa1, v16
	s_delay_alu instid0(VALU_DEP_1) | instskip(NEXT) | instid1(VALU_DEP_1)
	v_lshrrev_b16 v0, 13, v0
	v_mul_lo_u16 v0, v0, 51
	s_delay_alu instid0(VALU_DEP_1) | instskip(NEXT) | instid1(VALU_DEP_1)
	v_sub_nc_u16 v0, v122, v0
	v_and_b32_e32 v128, 0xff, v0
	s_delay_alu instid0(VALU_DEP_1)
	v_lshlrev_b32_e32 v4, 7, v128
	s_clause 0x1
	global_load_b128 v[16:19], v4, s[2:3] offset:544
	global_load_b128 v[5:8], v4, s[2:3] offset:560
	s_waitcnt vmcnt(1)
	v_mul_f64 v[0:1], v[58:59], v[18:19]
	scratch_store_b128 off, v[16:19], off offset:804 ; 16-byte Folded Spill
	s_waitcnt vmcnt(0)
	scratch_store_b128 off, v[5:8], off offset:772 ; 16-byte Folded Spill
	v_fma_f64 v[2:3], v[56:57], v[16:17], -v[0:1]
	v_mul_f64 v[0:1], v[56:57], v[18:19]
	v_add_f64 v[56:57], v[64:65], -v[141:142]
	s_delay_alu instid0(VALU_DEP_2) | instskip(SKIP_2) | instid1(VALU_DEP_2)
	v_fma_f64 v[24:25], v[58:59], v[16:17], v[0:1]
	v_mul_f64 v[0:1], v[28:29], v[7:8]
	v_add_f64 v[58:59], v[118:119], -v[143:144]
	v_fma_f64 v[18:19], v[26:27], v[5:6], -v[0:1]
	v_mul_f64 v[0:1], v[26:27], v[7:8]
	s_delay_alu instid0(VALU_DEP_1)
	v_fma_f64 v[20:21], v[28:29], v[5:6], v[0:1]
	s_clause 0x1
	global_load_b128 v[34:37], v4, s[2:3] offset:576
	global_load_b128 v[5:8], v4, s[2:3] offset:592
	s_waitcnt vmcnt(1)
	v_mul_f64 v[0:1], v[62:63], v[36:37]
	scratch_store_b128 off, v[34:37], off offset:836 ; 16-byte Folded Spill
	s_waitcnt vmcnt(0)
	scratch_store_b128 off, v[5:8], off offset:788 ; 16-byte Folded Spill
	v_fma_f64 v[26:27], v[60:61], v[34:35], -v[0:1]
	v_mul_f64 v[0:1], v[60:61], v[36:37]
	v_add_f64 v[60:61], v[92:93], v[110:111]
	s_delay_alu instid0(VALU_DEP_2) | instskip(SKIP_2) | instid1(VALU_DEP_2)
	v_fma_f64 v[28:29], v[62:63], v[34:35], v[0:1]
	v_mul_f64 v[0:1], v[32:33], v[7:8]
	v_add_f64 v[62:63], v[133:134], -v[137:138]
	v_fma_f64 v[16:17], v[30:31], v[5:6], -v[0:1]
	v_mul_f64 v[0:1], v[30:31], v[7:8]
	s_delay_alu instid0(VALU_DEP_1)
	v_fma_f64 v[0:1], v[32:33], v[5:6], v[0:1]
	s_clause 0x1
	global_load_b128 v[32:35], v4, s[2:3] offset:608
	global_load_b128 v[5:8], v4, s[2:3] offset:624
	s_waitcnt vmcnt(1)
	v_mul_f64 v[22:23], v[116:117], v[34:35]
	scratch_store_b128 off, v[32:35], off offset:868 ; 16-byte Folded Spill
	s_waitcnt vmcnt(0)
	scratch_store_b128 off, v[5:8], off offset:820 ; 16-byte Folded Spill
	v_fma_f64 v[30:31], v[114:115], v[32:33], -v[22:23]
	v_mul_f64 v[22:23], v[114:115], v[34:35]
	v_mul_f64 v[34:35], v[38:39], v[7:8]
	v_add_f64 v[114:115], v[135:136], v[139:140]
	s_delay_alu instid0(VALU_DEP_3) | instskip(SKIP_1) | instid1(VALU_DEP_4)
	v_fma_f64 v[22:23], v[116:117], v[32:33], v[22:23]
	v_mul_f64 v[32:33], v[40:41], v[7:8]
	v_fma_f64 v[34:35], v[40:41], v[5:6], v[34:35]
	v_add_f64 v[116:117], v[133:134], v[137:138]
	v_add_f64 v[137:138], v[90:91], v[106:107]
	;; [unrolled: 1-line block ×3, first 2 shown]
	v_fma_f64 v[32:33], v[38:39], v[5:6], -v[32:33]
	s_clause 0x1
	global_load_b128 v[8:11], v4, s[2:3] offset:640
	global_load_b128 v[4:7], v4, s[2:3] offset:656
	ds_load_b128 v[52:55], v200 offset:21216
	s_waitcnt vmcnt(1) lgkmcnt(1)
	v_mul_f64 v[36:37], v[131:132], v[10:11]
	s_waitcnt vmcnt(0) lgkmcnt(0)
	v_mul_f64 v[42:43], v[52:53], v[6:7]
	v_mul_f64 v[40:41], v[54:55], v[6:7]
	;; [unrolled: 1-line block ×3, first 2 shown]
	s_clause 0x1
	scratch_store_b128 off, v[8:11], off offset:892
	scratch_store_b128 off, v[4:7], off offset:852
	v_fma_f64 v[36:37], v[129:130], v[8:9], -v[36:37]
	v_fma_f64 v[42:43], v[54:55], v[4:5], v[42:43]
	v_add_f64 v[54:55], v[118:119], v[143:144]
	v_fma_f64 v[40:41], v[52:53], v[4:5], -v[40:41]
	v_add_f64 v[52:53], v[64:65], v[141:142]
	v_add_f64 v[64:65], v[135:136], -v[139:140]
	v_add_f64 v[135:136], v[108:109], -v[112:113]
	v_add_f64 v[141:142], v[94:95], v[104:105]
	v_add_f64 v[143:144], v[90:91], -v[106:107]
	v_fma_f64 v[38:39], v[131:132], v[8:9], v[38:39]
	v_lshlrev_b32_e32 v4, 4, v128
	v_add_f64 v[118:119], v[114:115], v[54:55]
	v_add_f64 v[139:140], v[116:117], v[52:53]
	s_delay_alu instid0(VALU_DEP_2) | instskip(NEXT) | instid1(VALU_DEP_1)
	v_add_f64 v[129:130], v[60:61], v[118:119]
	v_add_f64 v[129:130], v[108:109], v[129:130]
	s_delay_alu instid0(VALU_DEP_3) | instskip(NEXT) | instid1(VALU_DEP_2)
	v_add_f64 v[108:109], v[137:138], v[139:140]
	v_add_f64 v[112:113], v[112:113], v[129:130]
	s_delay_alu instid0(VALU_DEP_2) | instskip(SKIP_2) | instid1(VALU_DEP_3)
	v_add_f64 v[108:109], v[94:95], v[108:109]
	v_add_f64 v[94:95], v[94:95], -v[104:105]
	v_mul_f64 v[129:130], v[58:59], s[30:31]
	v_add_f64 v[108:109], v[104:105], v[108:109]
	ds_load_b128 v[90:93], v200
	ds_load_b128 v[104:107], v200 offset:816
	v_fma_f64 v[129:130], v[64:65], s[16:17], v[129:130]
	s_waitcnt lgkmcnt(0)
	s_waitcnt_vscnt null, 0x0
	s_barrier
	buffer_gl0_inv
	v_add_f64 v[110:111], v[92:93], v[112:113]
	v_mul_f64 v[112:113], v[56:57], s[30:31]
	v_fma_f64 v[131:132], v[52:53], s[24:25], v[90:91]
	v_fma_f64 v[147:148], v[54:55], s[24:25], v[92:93]
	;; [unrolled: 1-line block ×3, first 2 shown]
	v_add_f64 v[108:109], v[90:91], v[108:109]
	v_fma_f64 v[129:130], v[145:146], s[18:19], v[129:130]
	v_fma_f64 v[112:113], v[62:63], s[16:17], v[112:113]
	;; [unrolled: 1-line block ×4, first 2 shown]
	s_delay_alu instid0(VALU_DEP_4) | instskip(NEXT) | instid1(VALU_DEP_4)
	v_fma_f64 v[149:150], v[135:136], s[22:23], v[129:130]
	v_fma_f64 v[112:113], v[143:144], s[18:19], v[112:113]
	s_delay_alu instid0(VALU_DEP_4) | instskip(NEXT) | instid1(VALU_DEP_4)
	v_fma_f64 v[131:132], v[137:138], -0.5, v[131:132]
	v_fma_f64 v[147:148], v[60:61], -0.5, v[147:148]
	s_delay_alu instid0(VALU_DEP_3) | instskip(NEXT) | instid1(VALU_DEP_3)
	v_fma_f64 v[112:113], v[94:95], s[22:23], v[112:113]
	v_fma_f64 v[129:130], v[141:142], s[20:21], v[131:132]
	s_delay_alu instid0(VALU_DEP_3) | instskip(SKIP_1) | instid1(VALU_DEP_3)
	v_fma_f64 v[131:132], v[133:134], s[20:21], v[147:148]
	v_fma_f64 v[147:148], v[133:134], s[24:25], v[92:93]
	v_add_f64 v[129:130], v[149:150], v[129:130]
	s_delay_alu instid0(VALU_DEP_3)
	v_add_f64 v[131:132], v[131:132], -v[112:113]
	ds_store_b128 v200, v[108:111]
	v_fma_f64 v[108:109], v[149:150], -2.0, v[129:130]
	ds_store_b128 v200, v[129:132] offset:816
	v_fma_f64 v[110:111], v[112:113], 2.0, v[131:132]
	v_add_f64 v[112:113], v[90:91], v[137:138]
	v_fma_f64 v[131:132], v[141:142], s[24:25], v[90:91]
	v_fma_f64 v[149:150], v[116:117], s[24:25], v[90:91]
	v_add_f64 v[90:91], v[141:142], v[139:140]
	v_add_f64 v[129:130], v[92:93], v[60:61]
	;; [unrolled: 1-line block ×3, first 2 shown]
	s_delay_alu instid0(VALU_DEP_3) | instskip(SKIP_1) | instid1(VALU_DEP_3)
	v_fma_f64 v[90:91], v[90:91], -0.5, v[112:113]
	v_add_f64 v[112:113], v[135:136], v[58:59]
	v_fma_f64 v[92:93], v[92:93], -0.5, v[129:130]
	s_delay_alu instid0(VALU_DEP_2) | instskip(SKIP_1) | instid1(VALU_DEP_2)
	v_add_f64 v[118:119], v[112:113], -v[64:65]
	v_add_f64 v[112:113], v[94:95], v[56:57]
	v_fma_f64 v[90:91], v[118:119], s[18:19], v[90:91]
	s_delay_alu instid0(VALU_DEP_2) | instskip(SKIP_2) | instid1(VALU_DEP_3)
	v_add_f64 v[129:130], v[112:113], -v[62:63]
	v_fma_f64 v[112:113], v[52:53], s[0:1], v[131:132]
	v_mul_f64 v[131:132], v[94:95], s[26:27]
	v_fma_f64 v[92:93], v[129:130], s[28:29], v[92:93]
	s_delay_alu instid0(VALU_DEP_3) | instskip(NEXT) | instid1(VALU_DEP_3)
	v_fma_f64 v[112:113], v[137:138], -0.5, v[112:113]
	v_fma_f64 v[131:132], v[56:57], s[16:17], v[131:132]
	s_delay_alu instid0(VALU_DEP_2) | instskip(SKIP_1) | instid1(VALU_DEP_3)
	v_fma_f64 v[112:113], v[116:117], s[20:21], v[112:113]
	v_fma_f64 v[116:117], v[54:55], s[0:1], v[147:148]
	;; [unrolled: 1-line block ×3, first 2 shown]
	v_add_f64 v[147:148], v[76:77], v[80:81]
	v_add_f64 v[80:81], v[76:77], -v[80:81]
	s_delay_alu instid0(VALU_DEP_4) | instskip(NEXT) | instid1(VALU_DEP_4)
	v_fma_f64 v[116:117], v[60:61], -0.5, v[116:117]
	v_fma_f64 v[131:132], v[62:63], s[22:23], v[131:132]
	s_delay_alu instid0(VALU_DEP_2) | instskip(SKIP_1) | instid1(VALU_DEP_2)
	v_fma_f64 v[114:115], v[114:115], s[20:21], v[116:117]
	v_mul_f64 v[116:117], v[135:136], s[26:27]
	v_add_f64 v[114:115], v[114:115], -v[131:132]
	s_delay_alu instid0(VALU_DEP_2) | instskip(NEXT) | instid1(VALU_DEP_1)
	v_fma_f64 v[116:117], v[58:59], s[16:17], v[116:117]
	v_fma_f64 v[116:117], v[145:146], s[28:29], v[116:117]
	s_delay_alu instid0(VALU_DEP_1)
	v_fma_f64 v[139:140], v[64:65], s[22:23], v[116:117]
	v_mul_f64 v[116:117], v[118:119], s[18:19]
	v_mul_f64 v[118:119], v[129:130], s[18:19]
	v_add_f64 v[129:130], v[70:71], v[82:83]
	v_add_f64 v[82:83], v[70:71], -v[82:83]
	v_add_f64 v[112:113], v[139:140], v[112:113]
	v_fma_f64 v[116:117], v[116:117], -2.0, v[90:91]
	v_fma_f64 v[118:119], v[118:119], 2.0, v[92:93]
	ds_store_b128 v200, v[90:93] offset:2448
	v_fma_f64 v[92:93], v[131:132], 2.0, v[114:115]
	v_add_f64 v[131:132], v[72:73], v[84:85]
	v_add_f64 v[84:85], v[72:73], -v[84:85]
	ds_store_b128 v200, v[112:115] offset:1632
	v_fma_f64 v[90:91], v[139:140], -2.0, v[112:113]
	v_add_f64 v[112:113], v[66:67], v[86:87]
	v_add_f64 v[86:87], v[66:67], -v[86:87]
	v_add_f64 v[114:115], v[68:69], -v[88:89]
	v_add_f64 v[88:89], v[68:69], v[88:89]
	v_add_f64 v[139:140], v[74:75], v[78:79]
	v_add_f64 v[78:79], v[74:75], -v[78:79]
	v_fma_f64 v[68:69], v[112:113], s[24:25], v[104:105]
	v_mul_f64 v[72:73], v[86:87], s[30:31]
	v_mul_f64 v[66:67], v[114:115], s[30:31]
	v_fma_f64 v[70:71], v[88:89], s[24:25], v[106:107]
	v_fma_f64 v[186:187], v[114:115], s[16:17], v[186:187]
	;; [unrolled: 1-line block ×9, first 2 shown]
	v_fma_f64 v[68:69], v[139:140], -0.5, v[68:69]
	v_fma_f64 v[72:73], v[78:79], s[18:19], v[72:73]
	v_fma_f64 v[66:67], v[80:81], s[18:19], v[66:67]
	v_fma_f64 v[70:71], v[147:148], -0.5, v[70:71]
	v_fma_f64 v[186:187], v[84:85], s[22:23], v[186:187]
	v_fma_f64 v[188:189], v[82:83], s[22:23], v[188:189]
	;; [unrolled: 1-line block ×7, first 2 shown]
	s_delay_alu instid0(VALU_DEP_3) | instskip(NEXT) | instid1(VALU_DEP_3)
	v_add_f64 v[66:67], v[74:75], v[68:69]
	v_add_f64 v[68:69], v[70:71], -v[76:77]
	v_fma_f64 v[70:71], v[178:179], s[24:25], v[104:105]
	s_delay_alu instid0(VALU_DEP_4) | instskip(NEXT) | instid1(VALU_DEP_4)
	v_fma_f64 v[72:73], v[88:89], s[0:1], v[72:73]
	v_fma_f64 v[74:75], v[74:75], -2.0, v[66:67]
	s_delay_alu instid0(VALU_DEP_4) | instskip(NEXT) | instid1(VALU_DEP_4)
	v_fma_f64 v[76:77], v[76:77], 2.0, v[68:69]
	v_fma_f64 v[70:71], v[112:113], s[0:1], v[70:71]
	s_delay_alu instid0(VALU_DEP_4) | instskip(NEXT) | instid1(VALU_DEP_2)
	v_fma_f64 v[72:73], v[147:148], -0.5, v[72:73]
	v_fma_f64 v[70:71], v[139:140], -0.5, v[70:71]
	s_delay_alu instid0(VALU_DEP_2) | instskip(NEXT) | instid1(VALU_DEP_2)
	v_fma_f64 v[72:73], v[131:132], s[20:21], v[72:73]
	v_fma_f64 v[70:71], v[129:130], s[20:21], v[70:71]
	s_delay_alu instid0(VALU_DEP_2) | instskip(NEXT) | instid1(VALU_DEP_2)
	v_add_f64 v[72:73], v[72:73], -v[188:189]
	v_add_f64 v[70:71], v[186:187], v[70:71]
	ds_store_b128 v200, v[66:69] offset:8160
	v_fma_f64 v[68:69], v[188:189], 2.0, v[72:73]
	ds_store_b128 v200, v[70:73] offset:8976
	v_fma_f64 v[66:67], v[186:187], -2.0, v[70:71]
	v_add_f64 v[70:71], v[129:130], v[112:113]
	s_delay_alu instid0(VALU_DEP_1) | instskip(SKIP_1) | instid1(VALU_DEP_2)
	v_add_f64 v[72:73], v[139:140], v[70:71]
	v_add_f64 v[70:71], v[178:179], v[70:71]
	;; [unrolled: 1-line block ×4, first 2 shown]
	s_delay_alu instid0(VALU_DEP_2) | instskip(NEXT) | instid1(VALU_DEP_2)
	v_add_f64 v[46:47], v[48:49], v[46:47]
	v_add_f64 v[186:187], v[147:148], v[72:73]
	;; [unrolled: 1-line block ×3, first 2 shown]
	s_delay_alu instid0(VALU_DEP_2) | instskip(NEXT) | instid1(VALU_DEP_1)
	v_add_f64 v[44:45], v[44:45], v[186:187]
	v_add_f64 v[48:49], v[50:51], v[44:45]
	;; [unrolled: 1-line block ×3, first 2 shown]
	v_fma_f64 v[50:51], v[131:132], s[24:25], v[106:107]
	v_mul_f64 v[131:132], v[182:183], s[16:17]
	s_delay_alu instid0(VALU_DEP_4)
	v_add_f64 v[46:47], v[106:107], v[48:49]
	v_fma_f64 v[48:49], v[129:130], s[24:25], v[104:105]
	v_add_f64 v[129:130], v[182:183], v[114:115]
	v_fma_f64 v[50:51], v[180:181], s[0:1], v[50:51]
	v_add_f64 v[104:105], v[104:105], v[139:140]
	v_add_f64 v[106:107], v[106:107], v[147:148]
	v_fma_f64 v[48:49], v[178:179], s[0:1], v[48:49]
	v_add_f64 v[129:130], v[129:130], -v[84:85]
	v_fma_f64 v[84:85], v[84:85], s[26:27], -v[131:132]
	v_mul_f64 v[131:132], v[184:185], s[16:17]
	v_fma_f64 v[50:51], v[147:148], -0.5, v[50:51]
	v_fma_f64 v[70:71], v[70:71], -0.5, v[104:105]
	;; [unrolled: 1-line block ×4, first 2 shown]
	v_fma_f64 v[80:81], v[80:81], s[18:19], v[84:85]
	v_fma_f64 v[131:132], v[82:83], s[26:27], -v[131:132]
	v_add_f64 v[84:85], v[184:185], v[86:87]
	s_delay_alu instid0(VALU_DEP_2) | instskip(NEXT) | instid1(VALU_DEP_2)
	v_fma_f64 v[78:79], v[78:79], s[18:19], v[131:132]
	v_add_f64 v[82:83], v[84:85], -v[82:83]
	s_delay_alu instid0(VALU_DEP_2)
	v_fma_f64 v[84:85], v[86:87], s[22:23], v[78:79]
	v_fma_f64 v[86:87], v[114:115], s[22:23], v[80:81]
	;; [unrolled: 1-line block ×6, first 2 shown]
	s_delay_alu instid0(VALU_DEP_4) | instskip(NEXT) | instid1(VALU_DEP_4)
	v_add_f64 v[70:71], v[86:87], v[78:79]
	v_add_f64 v[72:73], v[80:81], -v[84:85]
	v_mul_f64 v[78:79], v[129:130], s[18:19]
	ds_store_b128 v200, v[48:51] offset:9792
	v_mul_f64 v[80:81], v[82:83], s[18:19]
	ds_store_b128 v200, v[70:73] offset:10608
	v_fma_f64 v[78:79], v[78:79], -2.0, v[48:49]
	v_fma_f64 v[48:49], v[86:87], -2.0, v[70:71]
	v_mul_f64 v[70:71], v[94:95], s[16:17]
	v_fma_f64 v[80:81], v[80:81], 2.0, v[50:51]
	v_fma_f64 v[50:51], v[84:85], 2.0, v[72:73]
	v_fma_f64 v[72:73], v[133:134], s[0:1], v[176:177]
	s_delay_alu instid0(VALU_DEP_4) | instskip(SKIP_1) | instid1(VALU_DEP_3)
	v_fma_f64 v[62:63], v[62:63], s[26:27], -v[70:71]
	v_mul_f64 v[70:71], v[135:136], s[16:17]
	v_fma_f64 v[60:61], v[60:61], -0.5, v[72:73]
	s_delay_alu instid0(VALU_DEP_3) | instskip(NEXT) | instid1(VALU_DEP_3)
	v_fma_f64 v[62:63], v[143:144], s[18:19], v[62:63]
	v_fma_f64 v[64:65], v[64:65], s[26:27], -v[70:71]
	v_fma_f64 v[70:71], v[141:142], s[0:1], v[149:150]
	s_delay_alu instid0(VALU_DEP_4) | instskip(NEXT) | instid1(VALU_DEP_4)
	v_fma_f64 v[54:55], v[54:55], s[20:21], v[60:61]
	v_fma_f64 v[62:63], v[56:57], s[22:23], v[62:63]
	s_delay_alu instid0(VALU_DEP_4) | instskip(NEXT) | instid1(VALU_DEP_4)
	v_fma_f64 v[64:65], v[145:146], s[18:19], v[64:65]
	v_fma_f64 v[70:71], v[137:138], -0.5, v[70:71]
	s_delay_alu instid0(VALU_DEP_3) | instskip(NEXT) | instid1(VALU_DEP_3)
	v_add_f64 v[54:55], v[54:55], -v[62:63]
	v_fma_f64 v[56:57], v[58:59], s[22:23], v[64:65]
	s_delay_alu instid0(VALU_DEP_3) | instskip(NEXT) | instid1(VALU_DEP_3)
	v_fma_f64 v[52:53], v[52:53], s[20:21], v[70:71]
	v_fma_f64 v[58:59], v[62:63], 2.0, v[54:55]
	s_delay_alu instid0(VALU_DEP_2) | instskip(NEXT) | instid1(VALU_DEP_1)
	v_add_f64 v[52:53], v[56:57], v[52:53]
	v_fma_f64 v[56:57], v[56:57], -2.0, v[52:53]
	ds_store_b128 v200, v[52:55] offset:3264
	ds_store_b128 v200, v[56:59] offset:4080
	;; [unrolled: 1-line block ×10, first 2 shown]
	v_add_f64 v[44:45], v[24:25], v[42:43]
	v_add_f64 v[24:25], v[24:25], -v[42:43]
	v_add_f64 v[42:43], v[2:3], v[40:41]
	v_add_f64 v[46:47], v[18:19], v[36:37]
	;; [unrolled: 1-line block ×3, first 2 shown]
	v_add_f64 v[38:39], v[20:21], -v[38:39]
	v_add_f64 v[50:51], v[26:27], v[32:33]
	v_add_f64 v[40:41], v[2:3], -v[40:41]
	v_add_f64 v[26:27], v[26:27], -v[32:33]
	v_add_f64 v[32:33], v[28:29], v[34:35]
	v_add_f64 v[28:29], v[28:29], -v[34:35]
	;; [unrolled: 3-line block ×3, first 2 shown]
	v_add_f64 v[54:55], v[0:1], v[22:23]
	v_add_f64 v[56:57], v[0:1], -v[22:23]
	v_fma_f64 v[18:19], v[42:43], s[24:25], v[12:13]
	v_add_f64 v[20:21], v[46:47], v[42:43]
	v_mul_f64 v[58:59], v[40:41], s[30:31]
	s_delay_alu instid0(VALU_DEP_3) | instskip(NEXT) | instid1(VALU_DEP_3)
	v_fma_f64 v[18:19], v[46:47], s[0:1], v[18:19]
	v_add_f64 v[2:3], v[50:51], v[20:21]
	v_add_f64 v[20:21], v[52:53], v[20:21]
	s_delay_alu instid0(VALU_DEP_4) | instskip(NEXT) | instid1(VALU_DEP_4)
	v_fma_f64 v[58:59], v[36:37], s[16:17], v[58:59]
	v_fma_f64 v[18:19], v[50:51], -0.5, v[18:19]
	s_delay_alu instid0(VALU_DEP_4) | instskip(NEXT) | instid1(VALU_DEP_3)
	v_add_f64 v[2:3], v[16:17], v[2:3]
	v_fma_f64 v[58:59], v[26:27], s[18:19], v[58:59]
	s_delay_alu instid0(VALU_DEP_3) | instskip(NEXT) | instid1(VALU_DEP_3)
	v_fma_f64 v[18:19], v[52:53], s[20:21], v[18:19]
	v_add_f64 v[2:3], v[30:31], v[2:3]
	v_add_f64 v[30:31], v[48:49], v[44:45]
	s_delay_alu instid0(VALU_DEP_4) | instskip(NEXT) | instid1(VALU_DEP_2)
	v_fma_f64 v[58:59], v[34:35], s[22:23], v[58:59]
	v_add_f64 v[16:17], v[32:33], v[30:31]
	s_delay_alu instid0(VALU_DEP_1) | instskip(SKIP_1) | instid1(VALU_DEP_2)
	v_add_f64 v[16:17], v[0:1], v[16:17]
	v_add_f64 v[0:1], v[12:13], v[2:3]
	;; [unrolled: 1-line block ×3, first 2 shown]
	v_fma_f64 v[22:23], v[44:45], s[24:25], v[14:15]
	s_delay_alu instid0(VALU_DEP_2) | instskip(SKIP_1) | instid1(VALU_DEP_3)
	v_add_f64 v[2:3], v[14:15], v[16:17]
	v_mul_f64 v[16:17], v[24:25], s[30:31]
	v_fma_f64 v[22:23], v[48:49], s[0:1], v[22:23]
	s_delay_alu instid0(VALU_DEP_2) | instskip(NEXT) | instid1(VALU_DEP_2)
	v_fma_f64 v[16:17], v[38:39], s[16:17], v[16:17]
	v_fma_f64 v[22:23], v[32:33], -0.5, v[22:23]
	s_delay_alu instid0(VALU_DEP_2) | instskip(NEXT) | instid1(VALU_DEP_2)
	v_fma_f64 v[16:17], v[28:29], s[18:19], v[16:17]
	v_fma_f64 v[22:23], v[54:55], s[20:21], v[22:23]
	s_delay_alu instid0(VALU_DEP_2) | instskip(NEXT) | instid1(VALU_DEP_1)
	v_fma_f64 v[60:61], v[56:57], s[22:23], v[16:17]
	v_add_f64 v[16:17], v[60:61], v[18:19]
	s_delay_alu instid0(VALU_DEP_3)
	v_add_f64 v[18:19], v[22:23], -v[58:59]
	ds_store_b128 v4, v[0:3] offset:14688
	v_fma_f64 v[0:1], v[60:61], -2.0, v[16:17]
	ds_store_b128 v4, v[16:19] offset:15504
	v_fma_f64 v[2:3], v[58:59], 2.0, v[18:19]
	v_fma_f64 v[16:17], v[52:53], s[24:25], v[12:13]
	v_fma_f64 v[58:59], v[46:47], s[24:25], v[12:13]
	v_add_f64 v[12:13], v[12:13], v[50:51]
	v_fma_f64 v[18:19], v[54:55], s[24:25], v[14:15]
	v_fma_f64 v[60:61], v[48:49], s[24:25], v[14:15]
	v_add_f64 v[14:15], v[14:15], v[32:33]
	s_delay_alu instid0(VALU_DEP_4) | instskip(SKIP_1) | instid1(VALU_DEP_1)
	v_fma_f64 v[20:21], v[20:21], -0.5, v[12:13]
	v_add_f64 v[12:13], v[54:55], v[30:31]
	v_fma_f64 v[22:23], v[12:13], -0.5, v[14:15]
	v_fma_f64 v[12:13], v[42:43], s[0:1], v[16:17]
	v_mul_f64 v[16:17], v[56:57], s[26:27]
	v_fma_f64 v[14:15], v[44:45], s[0:1], v[18:19]
	v_mul_f64 v[18:19], v[34:35], s[26:27]
	s_delay_alu instid0(VALU_DEP_4) | instskip(NEXT) | instid1(VALU_DEP_4)
	v_fma_f64 v[12:13], v[50:51], -0.5, v[12:13]
	v_fma_f64 v[16:17], v[24:25], s[16:17], v[16:17]
	s_delay_alu instid0(VALU_DEP_4) | instskip(NEXT) | instid1(VALU_DEP_4)
	v_fma_f64 v[14:15], v[32:33], -0.5, v[14:15]
	v_fma_f64 v[18:19], v[40:41], s[16:17], v[18:19]
	s_delay_alu instid0(VALU_DEP_4) | instskip(NEXT) | instid1(VALU_DEP_4)
	v_fma_f64 v[12:13], v[46:47], s[20:21], v[12:13]
	v_fma_f64 v[16:17], v[28:29], s[28:29], v[16:17]
	s_delay_alu instid0(VALU_DEP_4) | instskip(NEXT) | instid1(VALU_DEP_4)
	v_fma_f64 v[14:15], v[48:49], s[20:21], v[14:15]
	v_fma_f64 v[18:19], v[26:27], s[28:29], v[18:19]
	s_delay_alu instid0(VALU_DEP_3) | instskip(SKIP_1) | instid1(VALU_DEP_3)
	v_fma_f64 v[30:31], v[38:39], s[22:23], v[16:17]
	v_add_f64 v[16:17], v[56:57], v[24:25]
	v_fma_f64 v[46:47], v[36:37], s[22:23], v[18:19]
	s_delay_alu instid0(VALU_DEP_3) | instskip(NEXT) | instid1(VALU_DEP_3)
	v_add_f64 v[12:13], v[30:31], v[12:13]
	v_add_f64 v[48:49], v[16:17], -v[38:39]
	v_add_f64 v[16:17], v[34:35], v[40:41]
	s_delay_alu instid0(VALU_DEP_4) | instskip(NEXT) | instid1(VALU_DEP_2)
	v_add_f64 v[14:15], v[14:15], -v[46:47]
	v_add_f64 v[62:63], v[16:17], -v[36:37]
	s_delay_alu instid0(VALU_DEP_4) | instskip(SKIP_2) | instid1(VALU_DEP_4)
	v_fma_f64 v[16:17], v[48:49], s[18:19], v[20:21]
	v_fma_f64 v[20:21], v[30:31], -2.0, v[12:13]
	v_fma_f64 v[30:31], v[52:53], s[0:1], v[58:59]
	v_fma_f64 v[18:19], v[62:63], s[28:29], v[22:23]
	v_fma_f64 v[22:23], v[46:47], 2.0, v[14:15]
	ds_store_b128 v4, v[12:15] offset:16320
	v_mul_f64 v[12:13], v[48:49], s[18:19]
	v_mul_f64 v[14:15], v[62:63], s[18:19]
	ds_store_b128 v4, v[16:19] offset:17136
	v_fma_f64 v[12:13], v[12:13], -2.0, v[16:17]
	v_fma_f64 v[14:15], v[14:15], 2.0, v[18:19]
	v_mul_f64 v[16:17], v[34:35], s[16:17]
	v_mul_f64 v[18:19], v[56:57], s[16:17]
	v_fma_f64 v[34:35], v[54:55], s[0:1], v[60:61]
	s_delay_alu instid0(VALU_DEP_3) | instskip(NEXT) | instid1(VALU_DEP_3)
	v_fma_f64 v[16:17], v[36:37], s[26:27], -v[16:17]
	v_fma_f64 v[18:19], v[38:39], s[26:27], -v[18:19]
	s_delay_alu instid0(VALU_DEP_2) | instskip(NEXT) | instid1(VALU_DEP_2)
	v_fma_f64 v[16:17], v[26:27], s[18:19], v[16:17]
	v_fma_f64 v[18:19], v[28:29], s[18:19], v[18:19]
	v_fma_f64 v[26:27], v[50:51], -0.5, v[30:31]
	v_fma_f64 v[28:29], v[32:33], -0.5, v[34:35]
	s_delay_alu instid0(VALU_DEP_4) | instskip(NEXT) | instid1(VALU_DEP_4)
	v_fma_f64 v[30:31], v[40:41], s[22:23], v[16:17]
	v_fma_f64 v[24:25], v[24:25], s[22:23], v[18:19]
	s_delay_alu instid0(VALU_DEP_4) | instskip(NEXT) | instid1(VALU_DEP_4)
	v_fma_f64 v[16:17], v[42:43], s[20:21], v[26:27]
	v_fma_f64 v[18:19], v[44:45], s[20:21], v[28:29]
	s_delay_alu instid0(VALU_DEP_2) | instskip(NEXT) | instid1(VALU_DEP_2)
	v_add_f64 v[16:17], v[24:25], v[16:17]
	v_add_f64 v[18:19], v[18:19], -v[30:31]
	s_delay_alu instid0(VALU_DEP_2) | instskip(NEXT) | instid1(VALU_DEP_2)
	v_fma_f64 v[24:25], v[24:25], -2.0, v[16:17]
	v_fma_f64 v[26:27], v[30:31], 2.0, v[18:19]
	ds_store_b128 v4, v[16:19] offset:17952
	ds_store_b128 v4, v[24:27] offset:18768
	;; [unrolled: 1-line block ×5, first 2 shown]
	v_lshlrev_b32_e32 v0, 5, v152
	scratch_store_b32 off, v4, off offset:964 ; 4-byte Folded Spill
	s_waitcnt lgkmcnt(0)
	s_waitcnt_vscnt null, 0x0
	s_barrier
	buffer_gl0_inv
	v_add_co_u32 v2, s0, s2, v0
	s_delay_alu instid0(VALU_DEP_1) | instskip(NEXT) | instid1(VALU_DEP_2)
	v_add_co_ci_u32_e64 v3, null, s3, 0, s0
	v_add_co_u32 v0, s0, 0x1000, v2
	s_delay_alu instid0(VALU_DEP_1) | instskip(SKIP_1) | instid1(VALU_DEP_1)
	v_add_co_ci_u32_e64 v1, s0, 0, v3, s0
	v_add_co_u32 v2, s0, 0x1ba0, v2
	v_add_co_ci_u32_e64 v3, s0, 0, v3, s0
	s_clause 0x1
	global_load_b128 v[8:11], v[0:1], off offset:2976
	global_load_b128 v[4:7], v[2:3], off offset:16
	ds_load_b128 v[0:3], v200 offset:7344
	ds_load_b128 v[76:79], v200 offset:6528
	s_waitcnt vmcnt(1) lgkmcnt(1)
	v_mul_f64 v[12:13], v[2:3], v[10:11]
	scratch_store_b128 off, v[8:11], off offset:652 ; 16-byte Folded Spill
	v_fma_f64 v[56:57], v[0:1], v[8:9], -v[12:13]
	v_mul_f64 v[0:1], v[0:1], v[10:11]
	s_delay_alu instid0(VALU_DEP_1)
	v_fma_f64 v[58:59], v[2:3], v[8:9], v[0:1]
	ds_load_b128 v[0:3], v200 offset:14688
	ds_load_b128 v[12:15], v200 offset:15504
	s_waitcnt vmcnt(0)
	scratch_store_b128 off, v[4:7], off offset:636 ; 16-byte Folded Spill
	s_waitcnt lgkmcnt(1)
	v_mul_f64 v[16:17], v[2:3], v[6:7]
	s_delay_alu instid0(VALU_DEP_1) | instskip(SKIP_1) | instid1(VALU_DEP_2)
	v_fma_f64 v[60:61], v[0:1], v[4:5], -v[16:17]
	v_mul_f64 v[0:1], v[0:1], v[6:7]
	v_add_f64 v[88:89], v[56:57], v[60:61]
	s_delay_alu instid0(VALU_DEP_2) | instskip(SKIP_1) | instid1(VALU_DEP_1)
	v_fma_f64 v[62:63], v[2:3], v[4:5], v[0:1]
	v_lshlrev_b32_e32 v0, 5, v120
	v_add_co_u32 v2, s0, s2, v0
	s_delay_alu instid0(VALU_DEP_1) | instskip(NEXT) | instid1(VALU_DEP_2)
	v_add_co_ci_u32_e64 v3, null, s3, 0, s0
	v_add_co_u32 v0, s0, 0x1000, v2
	s_delay_alu instid0(VALU_DEP_1) | instskip(SKIP_1) | instid1(VALU_DEP_1)
	v_add_co_ci_u32_e64 v1, s0, 0, v3, s0
	v_add_co_u32 v2, s0, 0x1ba0, v2
	v_add_co_ci_u32_e64 v3, s0, 0, v3, s0
	s_clause 0x1
	global_load_b128 v[8:11], v[0:1], off offset:2976
	global_load_b128 v[4:7], v[2:3], off offset:16
	ds_load_b128 v[0:3], v200 offset:8160
	ds_load_b128 v[16:19], v200 offset:8976
	s_waitcnt vmcnt(1) lgkmcnt(1)
	v_mul_f64 v[20:21], v[2:3], v[10:11]
	scratch_store_b128 off, v[8:11], off offset:1020 ; 16-byte Folded Spill
	s_waitcnt vmcnt(0)
	scratch_store_b128 off, v[4:7], off offset:1004 ; 16-byte Folded Spill
	v_fma_f64 v[64:65], v[0:1], v[8:9], -v[20:21]
	v_mul_f64 v[0:1], v[0:1], v[10:11]
	s_delay_alu instid0(VALU_DEP_1) | instskip(SKIP_1) | instid1(VALU_DEP_1)
	v_fma_f64 v[66:67], v[2:3], v[8:9], v[0:1]
	v_mul_f64 v[0:1], v[14:15], v[6:7]
	v_fma_f64 v[68:69], v[12:13], v[4:5], -v[0:1]
	v_mul_f64 v[0:1], v[12:13], v[6:7]
	s_delay_alu instid0(VALU_DEP_1) | instskip(SKIP_1) | instid1(VALU_DEP_1)
	v_fma_f64 v[70:71], v[14:15], v[4:5], v[0:1]
	v_lshlrev_b32_e32 v0, 5, v122
	v_add_co_u32 v2, s0, s2, v0
	s_delay_alu instid0(VALU_DEP_1) | instskip(NEXT) | instid1(VALU_DEP_2)
	v_add_co_ci_u32_e64 v3, null, s3, 0, s0
	v_add_co_u32 v0, s0, 0x1000, v2
	s_delay_alu instid0(VALU_DEP_1) | instskip(SKIP_1) | instid1(VALU_DEP_1)
	v_add_co_ci_u32_e64 v1, s0, 0, v3, s0
	v_add_co_u32 v2, s0, 0x1ba0, v2
	v_add_co_ci_u32_e64 v3, s0, 0, v3, s0
	s_clause 0x1
	global_load_b128 v[8:11], v[0:1], off offset:2976
	global_load_b128 v[4:7], v[2:3], off offset:16
	s_waitcnt vmcnt(1) lgkmcnt(0)
	v_mul_f64 v[0:1], v[18:19], v[10:11]
	scratch_store_b128 off, v[8:11], off offset:1084 ; 16-byte Folded Spill
	v_fma_f64 v[72:73], v[16:17], v[8:9], -v[0:1]
	v_mul_f64 v[0:1], v[16:17], v[10:11]
	s_delay_alu instid0(VALU_DEP_1)
	v_fma_f64 v[74:75], v[18:19], v[8:9], v[0:1]
	ds_load_b128 v[0:3], v200 offset:16320
	ds_load_b128 v[12:15], v200 offset:17136
	s_waitcnt vmcnt(0)
	scratch_store_b128 off, v[4:7], off offset:1052 ; 16-byte Folded Spill
	s_waitcnt lgkmcnt(1)
	v_mul_f64 v[16:17], v[2:3], v[6:7]
	s_delay_alu instid0(VALU_DEP_1) | instskip(SKIP_1) | instid1(VALU_DEP_1)
	v_fma_f64 v[80:81], v[0:1], v[4:5], -v[16:17]
	v_mul_f64 v[0:1], v[0:1], v[6:7]
	v_fma_f64 v[82:83], v[2:3], v[4:5], v[0:1]
	v_lshlrev_b32_e32 v0, 5, v121
	s_delay_alu instid0(VALU_DEP_1) | instskip(NEXT) | instid1(VALU_DEP_1)
	v_add_co_u32 v2, s0, s2, v0
	v_add_co_ci_u32_e64 v3, null, s3, 0, s0
	s_delay_alu instid0(VALU_DEP_2) | instskip(NEXT) | instid1(VALU_DEP_1)
	v_add_co_u32 v0, s0, 0x1000, v2
	v_add_co_ci_u32_e64 v1, s0, 0, v3, s0
	v_add_co_u32 v2, s0, 0x1ba0, v2
	s_delay_alu instid0(VALU_DEP_1)
	v_add_co_ci_u32_e64 v3, s0, 0, v3, s0
	s_clause 0x1
	global_load_b128 v[8:11], v[0:1], off offset:2976
	global_load_b128 v[4:7], v[2:3], off offset:16
	ds_load_b128 v[0:3], v200 offset:9792
	ds_load_b128 v[16:19], v200 offset:10608
	s_waitcnt vmcnt(1) lgkmcnt(1)
	v_mul_f64 v[20:21], v[2:3], v[10:11]
	scratch_store_b128 off, v[8:11], off offset:1148 ; 16-byte Folded Spill
	s_waitcnt vmcnt(0)
	scratch_store_b128 off, v[4:7], off offset:1116 ; 16-byte Folded Spill
	v_fma_f64 v[84:85], v[0:1], v[8:9], -v[20:21]
	v_mul_f64 v[0:1], v[0:1], v[10:11]
	s_delay_alu instid0(VALU_DEP_1) | instskip(SKIP_1) | instid1(VALU_DEP_1)
	v_fma_f64 v[86:87], v[2:3], v[8:9], v[0:1]
	v_mul_f64 v[0:1], v[14:15], v[6:7]
	v_fma_f64 v[136:137], v[12:13], v[4:5], -v[0:1]
	v_mul_f64 v[0:1], v[12:13], v[6:7]
	s_delay_alu instid0(VALU_DEP_1) | instskip(SKIP_1) | instid1(VALU_DEP_1)
	v_fma_f64 v[132:133], v[14:15], v[4:5], v[0:1]
	v_lshlrev_b32_e32 v0, 5, v123
	v_add_co_u32 v2, s0, s2, v0
	s_delay_alu instid0(VALU_DEP_1) | instskip(NEXT) | instid1(VALU_DEP_2)
	v_add_co_ci_u32_e64 v3, null, s3, 0, s0
	v_add_co_u32 v0, s0, 0x1000, v2
	s_delay_alu instid0(VALU_DEP_1) | instskip(SKIP_1) | instid1(VALU_DEP_1)
	v_add_co_ci_u32_e64 v1, s0, 0, v3, s0
	v_add_co_u32 v2, s0, 0x1ba0, v2
	v_add_co_ci_u32_e64 v3, s0, 0, v3, s0
	s_clause 0x1
	global_load_b128 v[4:7], v[0:1], off offset:2976
	global_load_b128 v[0:3], v[2:3], off offset:16
	s_waitcnt vmcnt(1) lgkmcnt(0)
	v_mul_f64 v[20:21], v[18:19], v[6:7]
	scratch_store_b128 off, v[4:7], off offset:1212 ; 16-byte Folded Spill
	v_fma_f64 v[148:149], v[16:17], v[4:5], -v[20:21]
	v_mul_f64 v[16:17], v[16:17], v[6:7]
	s_delay_alu instid0(VALU_DEP_1)
	v_fma_f64 v[144:145], v[18:19], v[4:5], v[16:17]
	ds_load_b128 v[16:19], v200 offset:17952
	ds_load_b128 v[24:27], v200 offset:18768
	s_waitcnt vmcnt(0)
	scratch_store_b128 off, v[0:3], off offset:1164 ; 16-byte Folded Spill
	s_waitcnt lgkmcnt(1)
	v_mul_f64 v[20:21], v[18:19], v[2:3]
	s_delay_alu instid0(VALU_DEP_1) | instskip(SKIP_1) | instid1(VALU_DEP_1)
	v_fma_f64 v[150:151], v[16:17], v[0:1], -v[20:21]
	v_mul_f64 v[16:17], v[16:17], v[2:3]
	v_fma_f64 v[146:147], v[18:19], v[0:1], v[16:17]
	v_lshlrev_b32_e32 v0, 5, v124
	s_delay_alu instid0(VALU_DEP_1) | instskip(NEXT) | instid1(VALU_DEP_1)
	v_add_co_u32 v0, s0, s2, v0
	v_add_co_ci_u32_e64 v1, null, s3, 0, s0
	s_delay_alu instid0(VALU_DEP_2) | instskip(NEXT) | instid1(VALU_DEP_1)
	v_add_co_u32 v16, s0, 0x1000, v0
	v_add_co_ci_u32_e64 v17, s0, 0, v1, s0
	v_add_co_u32 v18, s0, 0x1ba0, v0
	s_delay_alu instid0(VALU_DEP_1)
	;; [unrolled: 58-line block ×3, first 2 shown]
	v_add_co_ci_u32_e64 v35, s0, 0, v1, s0
	s_clause 0x1
	global_load_b128 v[4:7], v[32:33], off offset:2976
	global_load_b128 v[0:3], v[34:35], off offset:16
	ds_load_b128 v[44:47], v200 offset:13056
	ds_load_b128 v[48:51], v200 offset:13872
	s_waitcnt vmcnt(1) lgkmcnt(1)
	v_mul_f64 v[52:53], v[46:47], v[6:7]
	scratch_store_b128 off, v[4:7], off offset:1308 ; 16-byte Folded Spill
	s_waitcnt vmcnt(0)
	scratch_store_b128 off, v[0:3], off offset:1292 ; 16-byte Folded Spill
	v_fma_f64 v[196:197], v[44:45], v[4:5], -v[52:53]
	v_mul_f64 v[44:45], v[44:45], v[6:7]
	s_delay_alu instid0(VALU_DEP_1) | instskip(SKIP_1) | instid1(VALU_DEP_1)
	v_fma_f64 v[198:199], v[46:47], v[4:5], v[44:45]
	v_mul_f64 v[44:45], v[42:43], v[2:3]
	v_fma_f64 v[204:205], v[40:41], v[0:1], -v[44:45]
	v_mul_f64 v[40:41], v[40:41], v[2:3]
	s_delay_alu instid0(VALU_DEP_1) | instskip(SKIP_1) | instid1(VALU_DEP_1)
	v_fma_f64 v[206:207], v[42:43], v[0:1], v[40:41]
	v_lshlrev_b32_e32 v0, 5, v127
	v_add_co_u32 v0, s0, s2, v0
	s_delay_alu instid0(VALU_DEP_1) | instskip(NEXT) | instid1(VALU_DEP_2)
	v_add_co_ci_u32_e64 v1, null, s3, 0, s0
	v_add_co_u32 v40, s0, 0x1000, v0
	s_delay_alu instid0(VALU_DEP_1) | instskip(SKIP_1) | instid1(VALU_DEP_1)
	v_add_co_ci_u32_e64 v41, s0, 0, v1, s0
	v_add_co_u32 v42, s0, 0x1ba0, v0
	v_add_co_ci_u32_e64 v43, s0, 0, v1, s0
	s_clause 0x1
	global_load_b128 v[4:7], v[40:41], off offset:2976
	global_load_b128 v[0:3], v[42:43], off offset:16
	s_waitcnt vmcnt(1) lgkmcnt(0)
	v_mul_f64 v[52:53], v[50:51], v[6:7]
	scratch_store_b128 off, v[4:7], off offset:1340 ; 16-byte Folded Spill
	s_waitcnt vmcnt(0)
	scratch_store_b128 off, v[0:3], off offset:1324 ; 16-byte Folded Spill
	v_fma_f64 v[208:209], v[48:49], v[4:5], -v[52:53]
	v_mul_f64 v[48:49], v[48:49], v[6:7]
	s_delay_alu instid0(VALU_DEP_1) | instskip(SKIP_3) | instid1(VALU_DEP_1)
	v_fma_f64 v[210:211], v[50:51], v[4:5], v[48:49]
	ds_load_b128 v[48:51], v200 offset:21216
	s_waitcnt lgkmcnt(0)
	v_mul_f64 v[52:53], v[50:51], v[2:3]
	v_fma_f64 v[212:213], v[48:49], v[0:1], -v[52:53]
	v_mul_f64 v[48:49], v[48:49], v[2:3]
	s_delay_alu instid0(VALU_DEP_1)
	v_fma_f64 v[214:215], v[50:51], v[0:1], v[48:49]
	ds_load_b128 v[48:51], v200
	ds_load_b128 v[52:55], v200 offset:816
	v_lshlrev_b32_e32 v0, 4, v152
	s_waitcnt lgkmcnt(1)
	v_fma_f64 v[94:95], v[88:89], -0.5, v[48:49]
	v_add_f64 v[88:89], v[58:59], v[62:63]
	v_add_f64 v[48:49], v[48:49], v[56:57]
	s_delay_alu instid0(VALU_DEP_2) | instskip(SKIP_2) | instid1(VALU_DEP_4)
	v_fma_f64 v[106:107], v[88:89], -0.5, v[50:51]
	v_add_f64 v[50:51], v[50:51], v[58:59]
	v_add_f64 v[58:59], v[58:59], -v[62:63]
	v_add_f64 v[88:89], v[48:49], v[60:61]
	v_add_f64 v[48:49], v[56:57], -v[60:61]
	v_add_f64 v[56:57], v[66:67], -v[70:71]
	;; [unrolled: 1-line block ×3, first 2 shown]
	v_add_f64 v[90:91], v[50:51], v[62:63]
	v_fma_f64 v[92:93], v[58:59], s[8:9], v[94:95]
	v_fma_f64 v[104:105], v[58:59], s[14:15], v[94:95]
	;; [unrolled: 1-line block ×4, first 2 shown]
	v_add_f64 v[48:49], v[64:65], v[68:69]
	v_add_f64 v[50:51], v[66:67], v[70:71]
	;; [unrolled: 1-line block ×3, first 2 shown]
	s_waitcnt lgkmcnt(0)
	s_delay_alu instid0(VALU_DEP_3) | instskip(SKIP_1) | instid1(VALU_DEP_4)
	v_fma_f64 v[48:49], v[48:49], -0.5, v[52:53]
	v_add_f64 v[52:53], v[52:53], v[64:65]
	v_fma_f64 v[50:51], v[50:51], -0.5, v[54:55]
	v_add_f64 v[54:55], v[54:55], v[66:67]
	s_delay_alu instid0(VALU_DEP_4) | instskip(NEXT) | instid1(VALU_DEP_4)
	v_fma_f64 v[112:113], v[56:57], s[8:9], v[48:49]
	v_add_f64 v[108:109], v[52:53], v[68:69]
	v_add_f64 v[52:53], v[64:65], -v[68:69]
	v_fma_f64 v[116:117], v[56:57], s[14:15], v[48:49]
	v_add_f64 v[56:57], v[72:73], v[80:81]
	v_add_f64 v[110:111], v[54:55], v[70:71]
	v_add_f64 v[68:69], v[188:189], -v[192:193]
	v_fma_f64 v[114:115], v[52:53], s[14:15], v[50:51]
	v_fma_f64 v[118:119], v[52:53], s[8:9], v[50:51]
	ds_load_b128 v[48:51], v200 offset:1632
	ds_load_b128 v[52:55], v200 offset:2448
	s_waitcnt lgkmcnt(1)
	v_fma_f64 v[56:57], v[56:57], -0.5, v[48:49]
	v_add_f64 v[48:49], v[48:49], v[72:73]
	v_fma_f64 v[58:59], v[58:59], -0.5, v[50:51]
	v_add_f64 v[50:51], v[50:51], v[74:75]
	s_delay_alu instid0(VALU_DEP_4) | instskip(NEXT) | instid1(VALU_DEP_4)
	v_fma_f64 v[124:125], v[60:61], s[8:9], v[56:57]
	v_add_f64 v[120:121], v[48:49], v[80:81]
	v_add_f64 v[48:49], v[72:73], -v[80:81]
	s_delay_alu instid0(VALU_DEP_4)
	v_add_f64 v[122:123], v[50:51], v[82:83]
	v_add_f64 v[50:51], v[86:87], v[132:133]
	v_fma_f64 v[128:129], v[60:61], s[14:15], v[56:57]
	v_add_f64 v[56:57], v[86:87], -v[132:133]
	v_add_f64 v[60:61], v[144:145], -v[146:147]
	;; [unrolled: 1-line block ×4, first 2 shown]
	v_fma_f64 v[126:127], v[48:49], s[14:15], v[58:59]
	v_fma_f64 v[130:131], v[48:49], s[8:9], v[58:59]
	v_add_f64 v[48:49], v[84:85], v[136:137]
	s_waitcnt lgkmcnt(0)
	v_fma_f64 v[50:51], v[50:51], -0.5, v[54:55]
	v_add_f64 v[54:55], v[54:55], v[86:87]
	v_add_f64 v[58:59], v[144:145], v[146:147]
	s_delay_alu instid0(VALU_DEP_4) | instskip(SKIP_1) | instid1(VALU_DEP_4)
	v_fma_f64 v[48:49], v[48:49], -0.5, v[52:53]
	v_add_f64 v[52:53], v[52:53], v[84:85]
	v_add_f64 v[134:135], v[54:55], v[132:133]
	s_delay_alu instid0(VALU_DEP_3) | instskip(NEXT) | instid1(VALU_DEP_3)
	v_fma_f64 v[140:141], v[56:57], s[14:15], v[48:49]
	v_add_f64 v[132:133], v[52:53], v[136:137]
	v_add_f64 v[52:53], v[84:85], -v[136:137]
	v_fma_f64 v[136:137], v[56:57], s[8:9], v[48:49]
	v_add_f64 v[56:57], v[148:149], v[150:151]
	v_add_f64 v[84:85], v[210:211], -v[214:215]
	s_delay_alu instid0(VALU_DEP_4)
	v_fma_f64 v[138:139], v[52:53], s[14:15], v[50:51]
	v_fma_f64 v[142:143], v[52:53], s[8:9], v[50:51]
	ds_load_b128 v[48:51], v200 offset:3264
	ds_load_b128 v[52:55], v200 offset:4080
	s_waitcnt lgkmcnt(1)
	v_fma_f64 v[56:57], v[56:57], -0.5, v[48:49]
	v_add_f64 v[48:49], v[48:49], v[148:149]
	v_fma_f64 v[58:59], v[58:59], -0.5, v[50:51]
	v_add_f64 v[50:51], v[50:51], v[144:145]
	s_delay_alu instid0(VALU_DEP_4) | instskip(NEXT) | instid1(VALU_DEP_4)
	v_fma_f64 v[176:177], v[60:61], s[14:15], v[56:57]
	v_add_f64 v[144:145], v[48:49], v[150:151]
	v_add_f64 v[48:49], v[148:149], -v[150:151]
	s_delay_alu instid0(VALU_DEP_4)
	v_add_f64 v[146:147], v[50:51], v[146:147]
	v_add_f64 v[50:51], v[180:181], v[182:183]
	v_fma_f64 v[148:149], v[60:61], s[8:9], v[56:57]
	v_add_f64 v[56:57], v[180:181], -v[182:183]
	v_add_f64 v[60:61], v[190:191], -v[194:195]
	v_fma_f64 v[150:151], v[48:49], s[14:15], v[58:59]
	v_fma_f64 v[178:179], v[48:49], s[8:9], v[58:59]
	v_add_f64 v[48:49], v[184:185], v[186:187]
	s_waitcnt lgkmcnt(0)
	v_fma_f64 v[50:51], v[50:51], -0.5, v[54:55]
	v_add_f64 v[54:55], v[54:55], v[180:181]
	s_delay_alu instid0(VALU_DEP_3) | instskip(SKIP_1) | instid1(VALU_DEP_3)
	v_fma_f64 v[48:49], v[48:49], -0.5, v[52:53]
	v_add_f64 v[52:53], v[52:53], v[184:185]
	v_add_f64 v[182:183], v[54:55], v[182:183]
	s_delay_alu instid0(VALU_DEP_3) | instskip(NEXT) | instid1(VALU_DEP_3)
	v_fma_f64 v[1:2], v[56:57], s[14:15], v[48:49]
	v_add_f64 v[180:181], v[52:53], v[186:187]
	v_add_f64 v[52:53], v[184:185], -v[186:187]
	v_fma_f64 v[184:185], v[56:57], s[8:9], v[48:49]
	v_add_f64 v[56:57], v[188:189], v[192:193]
	s_delay_alu instid0(VALU_DEP_3)
	v_fma_f64 v[186:187], v[52:53], s[14:15], v[50:51]
	v_fma_f64 v[3:4], v[52:53], s[8:9], v[50:51]
	ds_load_b128 v[52:55], v200 offset:4896
	ds_load_b128 v[64:67], v200 offset:5712
	ds_store_b128 v200, v[88:91]
	ds_store_b128 v200, v[108:111] offset:816
	ds_store_b128 v200, v[120:123] offset:1632
	;; [unrolled: 1-line block ×16, first 2 shown]
	s_waitcnt lgkmcnt(18)
	v_fma_f64 v[58:59], v[56:57], -0.5, v[52:53]
	v_add_f64 v[56:57], v[190:191], v[194:195]
	v_add_f64 v[52:53], v[52:53], v[188:189]
	v_add_f64 v[188:189], v[208:209], -v[212:213]
	v_add_co_u32 v112, s0, s12, v0
	s_delay_alu instid0(VALU_DEP_1) | instskip(NEXT) | instid1(VALU_DEP_2)
	v_add_co_ci_u32_e64 v113, null, s13, 0, s0
	v_add_co_u32 v88, s0, 0x5000, v112
	s_delay_alu instid0(VALU_DEP_1) | instskip(SKIP_1) | instid1(VALU_DEP_1)
	v_add_co_ci_u32_e64 v89, s0, 0, v113, s0
	v_add_co_u32 v116, s0, 0x5610, v112
	v_add_co_ci_u32_e64 v117, s0, 0, v113, s0
	scratch_store_b128 off, v[1:4], off offset:1356 ; 16-byte Folded Spill
	v_fma_f64 v[9:10], v[60:61], s[8:9], v[58:59]
	v_fma_f64 v[62:63], v[56:57], -0.5, v[54:55]
	v_add_f64 v[54:55], v[54:55], v[190:191]
	v_add_f64 v[5:6], v[52:53], v[192:193]
	v_fma_f64 v[13:14], v[60:61], s[14:15], v[58:59]
	s_delay_alu instid0(VALU_DEP_4)
	v_fma_f64 v[11:12], v[68:69], s[14:15], v[62:63]
	v_fma_f64 v[15:16], v[68:69], s[8:9], v[62:63]
	v_add_f64 v[68:69], v[196:197], v[204:205]
	v_add_f64 v[7:8], v[54:55], v[194:195]
	ds_store_b128 v200, v[1:4] offset:18768
	s_clause 0x1
	scratch_store_b128 off, v[9:12], off offset:1388
	scratch_store_b128 off, v[13:16], off offset:1404
	s_waitcnt lgkmcnt(18)
	v_fma_f64 v[70:71], v[68:69], -0.5, v[64:65]
	v_add_f64 v[68:69], v[198:199], v[206:207]
	v_add_f64 v[64:65], v[64:65], v[196:197]
	scratch_store_b128 off, v[5:8], off offset:1372 ; 16-byte Folded Spill
	ds_store_b128 v200, v[9:12] offset:12240
	ds_store_b128 v200, v[13:16] offset:19584
	v_fma_f64 v[21:22], v[72:73], s[8:9], v[70:71]
	v_fma_f64 v[74:75], v[68:69], -0.5, v[66:67]
	v_add_f64 v[66:67], v[66:67], v[198:199]
	v_add_f64 v[17:18], v[64:65], v[204:205]
	v_fma_f64 v[25:26], v[72:73], s[14:15], v[70:71]
	s_delay_alu instid0(VALU_DEP_4)
	v_fma_f64 v[23:24], v[80:81], s[14:15], v[74:75]
	v_fma_f64 v[27:28], v[80:81], s[8:9], v[74:75]
	v_add_f64 v[80:81], v[208:209], v[212:213]
	v_add_f64 v[19:20], v[66:67], v[206:207]
	ds_store_b128 v200, v[5:8] offset:4896
	s_clause 0x1
	scratch_store_b128 off, v[21:24], off offset:1436
	scratch_store_b128 off, v[25:28], off offset:1452
	v_fma_f64 v[82:83], v[80:81], -0.5, v[76:77]
	ds_store_b128 v200, v[17:20] offset:5712
	v_add_f64 v[80:81], v[210:211], v[214:215]
	v_add_f64 v[76:77], v[76:77], v[208:209]
	scratch_store_b128 off, v[17:20], off offset:1420 ; 16-byte Folded Spill
	v_fma_f64 v[33:34], v[84:85], s[8:9], v[82:83]
	v_fma_f64 v[37:38], v[84:85], s[14:15], v[82:83]
	v_fma_f64 v[86:87], v[80:81], -0.5, v[78:79]
	v_add_f64 v[78:79], v[78:79], v[210:211]
	v_add_f64 v[29:30], v[76:77], v[212:213]
	s_delay_alu instid0(VALU_DEP_3) | instskip(NEXT) | instid1(VALU_DEP_3)
	v_fma_f64 v[35:36], v[188:189], s[14:15], v[86:87]
	v_add_f64 v[31:32], v[78:79], v[214:215]
	v_fma_f64 v[39:40], v[188:189], s[8:9], v[86:87]
	ds_store_b128 v200, v[25:28] offset:20400
	ds_store_b128 v200, v[21:24] offset:13056
	ds_store_b128 v200, v[33:36] offset:13872
	scratch_store_b128 off, v[29:32], off offset:1468 ; 16-byte Folded Spill
	ds_store_b128 v200, v[29:32] offset:6528
	s_clause 0x1
	scratch_store_b128 off, v[33:36], off offset:1484
	scratch_store_b128 off, v[37:40], off offset:1500
	ds_store_b128 v200, v[37:40] offset:21216
	s_waitcnt lgkmcnt(0)
	s_waitcnt_vscnt null, 0x0
	s_barrier
	buffer_gl0_inv
	global_load_b128 v[90:93], v[88:89], off offset:1552
	ds_load_b128 v[104:107], v200
	ds_load_b128 v[108:111], v200 offset:1296
	global_load_b128 v[118:121], v[116:117], off offset:3888
	s_waitcnt vmcnt(1) lgkmcnt(1)
	v_mul_f64 v[88:89], v[106:107], v[92:93]
	v_mul_f64 v[92:93], v[104:105], v[92:93]
	s_delay_alu instid0(VALU_DEP_2) | instskip(NEXT) | instid1(VALU_DEP_2)
	v_fma_f64 v[88:89], v[104:105], v[90:91], -v[88:89]
	v_fma_f64 v[90:91], v[106:107], v[90:91], v[92:93]
	s_clause 0x1
	global_load_b128 v[104:107], v[116:117], off offset:1296
	global_load_b128 v[122:125], v[116:117], off offset:2592
	s_waitcnt vmcnt(1) lgkmcnt(0)
	v_mul_f64 v[92:93], v[110:111], v[106:107]
	v_mul_f64 v[94:95], v[108:109], v[106:107]
	s_delay_alu instid0(VALU_DEP_2) | instskip(NEXT) | instid1(VALU_DEP_2)
	v_fma_f64 v[92:93], v[108:109], v[104:105], -v[92:93]
	v_fma_f64 v[94:95], v[110:111], v[104:105], v[94:95]
	ds_load_b128 v[104:107], v200 offset:2592
	ds_load_b128 v[108:111], v200 offset:3888
	s_waitcnt vmcnt(0) lgkmcnt(1)
	v_mul_f64 v[114:115], v[106:107], v[124:125]
	v_mul_f64 v[124:125], v[104:105], v[124:125]
	s_delay_alu instid0(VALU_DEP_2) | instskip(SKIP_3) | instid1(VALU_DEP_4)
	v_fma_f64 v[104:105], v[104:105], v[122:123], -v[114:115]
	s_waitcnt lgkmcnt(0)
	v_mul_f64 v[114:115], v[110:111], v[120:121]
	v_mul_f64 v[120:121], v[108:109], v[120:121]
	v_fma_f64 v[106:107], v[106:107], v[122:123], v[124:125]
	s_delay_alu instid0(VALU_DEP_3) | instskip(SKIP_1) | instid1(VALU_DEP_1)
	v_fma_f64 v[108:109], v[108:109], v[118:119], -v[114:115]
	v_add_co_u32 v114, s0, 0x6000, v112
	v_add_co_ci_u32_e64 v115, s0, 0, v113, s0
	v_fma_f64 v[110:111], v[110:111], v[118:119], v[120:121]
	s_clause 0x1
	global_load_b128 v[118:121], v[114:115], off offset:2640
	global_load_b128 v[122:125], v[114:115], off offset:3936
	ds_load_b128 v[126:129], v200 offset:5184
	ds_load_b128 v[130:133], v200 offset:6480
	s_waitcnt vmcnt(1) lgkmcnt(1)
	v_mul_f64 v[114:115], v[128:129], v[120:121]
	v_mul_f64 v[120:121], v[126:127], v[120:121]
	s_delay_alu instid0(VALU_DEP_2) | instskip(SKIP_2) | instid1(VALU_DEP_3)
	v_fma_f64 v[126:127], v[126:127], v[118:119], -v[114:115]
	s_waitcnt vmcnt(0) lgkmcnt(0)
	v_mul_f64 v[114:115], v[132:133], v[124:125]
	v_fma_f64 v[128:129], v[128:129], v[118:119], v[120:121]
	v_mul_f64 v[120:121], v[130:131], v[124:125]
	s_delay_alu instid0(VALU_DEP_3) | instskip(SKIP_1) | instid1(VALU_DEP_1)
	v_fma_f64 v[118:119], v[130:131], v[122:123], -v[114:115]
	v_add_co_u32 v114, s0, 0x7000, v112
	v_add_co_ci_u32_e64 v115, s0, 0, v113, s0
	s_delay_alu instid0(VALU_DEP_4)
	v_fma_f64 v[120:121], v[132:133], v[122:123], v[120:121]
	s_clause 0x1
	global_load_b128 v[122:125], v[114:115], off offset:1136
	global_load_b128 v[130:133], v[114:115], off offset:2432
	ds_load_b128 v[134:137], v200 offset:7776
	ds_load_b128 v[138:141], v200 offset:9072
	v_add_co_u32 v150, s0, 0x8000, v112
	s_delay_alu instid0(VALU_DEP_1) | instskip(SKIP_3) | instid1(VALU_DEP_2)
	v_add_co_ci_u32_e64 v151, s0, 0, v113, s0
	s_waitcnt vmcnt(1) lgkmcnt(1)
	v_mul_f64 v[142:143], v[136:137], v[124:125]
	v_mul_f64 v[124:125], v[134:135], v[124:125]
	v_fma_f64 v[134:135], v[134:135], v[122:123], -v[142:143]
	s_delay_alu instid0(VALU_DEP_2) | instskip(SKIP_3) | instid1(VALU_DEP_2)
	v_fma_f64 v[136:137], v[136:137], v[122:123], v[124:125]
	s_waitcnt vmcnt(0) lgkmcnt(0)
	v_mul_f64 v[122:123], v[140:141], v[132:133]
	v_mul_f64 v[124:125], v[138:139], v[132:133]
	v_fma_f64 v[122:123], v[138:139], v[130:131], -v[122:123]
	s_delay_alu instid0(VALU_DEP_2)
	v_fma_f64 v[124:125], v[140:141], v[130:131], v[124:125]
	s_clause 0x1
	global_load_b128 v[130:133], v[114:115], off offset:3728
	global_load_b128 v[138:141], v[150:151], off offset:928
	ds_load_b128 v[142:145], v200 offset:10368
	ds_load_b128 v[146:149], v200 offset:11664
	s_waitcnt vmcnt(1) lgkmcnt(1)
	v_mul_f64 v[114:115], v[144:145], v[132:133]
	v_mul_f64 v[132:133], v[142:143], v[132:133]
	s_delay_alu instid0(VALU_DEP_2) | instskip(NEXT) | instid1(VALU_DEP_2)
	v_fma_f64 v[142:143], v[142:143], v[130:131], -v[114:115]
	v_fma_f64 v[144:145], v[144:145], v[130:131], v[132:133]
	s_waitcnt vmcnt(0) lgkmcnt(0)
	v_mul_f64 v[114:115], v[148:149], v[140:141]
	v_mul_f64 v[132:133], v[146:147], v[140:141]
	s_delay_alu instid0(VALU_DEP_2) | instskip(NEXT) | instid1(VALU_DEP_2)
	v_fma_f64 v[130:131], v[146:147], v[138:139], -v[114:115]
	v_fma_f64 v[132:133], v[148:149], v[138:139], v[132:133]
	s_clause 0x1
	global_load_b128 v[138:141], v[150:151], off offset:2224
	global_load_b128 v[146:149], v[150:151], off offset:3520
	ds_load_b128 v[176:179], v200 offset:12960
	ds_load_b128 v[180:183], v200 offset:14256
	s_waitcnt vmcnt(1) lgkmcnt(1)
	v_mul_f64 v[114:115], v[178:179], v[140:141]
	v_mul_f64 v[140:141], v[176:177], v[140:141]
	s_delay_alu instid0(VALU_DEP_2) | instskip(SKIP_2) | instid1(VALU_DEP_3)
	v_fma_f64 v[176:177], v[176:177], v[138:139], -v[114:115]
	s_waitcnt vmcnt(0) lgkmcnt(0)
	v_mul_f64 v[114:115], v[182:183], v[148:149]
	v_fma_f64 v[178:179], v[178:179], v[138:139], v[140:141]
	v_mul_f64 v[140:141], v[180:181], v[148:149]
	s_delay_alu instid0(VALU_DEP_3) | instskip(SKIP_1) | instid1(VALU_DEP_1)
	v_fma_f64 v[138:139], v[180:181], v[146:147], -v[114:115]
	v_add_co_u32 v114, s0, 0x9000, v112
	v_add_co_ci_u32_e64 v115, s0, 0, v113, s0
	s_delay_alu instid0(VALU_DEP_4)
	v_fma_f64 v[140:141], v[182:183], v[146:147], v[140:141]
	s_clause 0x1
	global_load_b128 v[146:149], v[114:115], off offset:720
	global_load_b128 v[180:183], v[114:115], off offset:2016
	ds_load_b128 v[184:187], v200 offset:15552
	ds_load_b128 v[188:191], v200 offset:16848
	s_waitcnt vmcnt(1) lgkmcnt(1)
	v_mul_f64 v[150:151], v[186:187], v[148:149]
	v_mul_f64 v[192:193], v[184:185], v[148:149]
	s_delay_alu instid0(VALU_DEP_2) | instskip(NEXT) | instid1(VALU_DEP_2)
	v_fma_f64 v[148:149], v[184:185], v[146:147], -v[150:151]
	v_fma_f64 v[150:151], v[186:187], v[146:147], v[192:193]
	s_waitcnt vmcnt(0) lgkmcnt(0)
	v_mul_f64 v[146:147], v[190:191], v[182:183]
	v_mul_f64 v[184:185], v[188:189], v[182:183]
	s_delay_alu instid0(VALU_DEP_2) | instskip(SKIP_1) | instid1(VALU_DEP_1)
	v_fma_f64 v[182:183], v[188:189], v[180:181], -v[146:147]
	v_add_co_u32 v146, s0, 0xa000, v112
	v_add_co_ci_u32_e64 v147, s0, 0, v113, s0
	s_clause 0x1
	global_load_b128 v[112:115], v[114:115], off offset:3312
	global_load_b128 v[186:189], v[146:147], off offset:512
	v_fma_f64 v[184:185], v[190:191], v[180:181], v[184:185]
	ds_load_b128 v[190:193], v200 offset:18144
	ds_load_b128 v[194:197], v200 offset:19440
	s_waitcnt vmcnt(1) lgkmcnt(1)
	v_mul_f64 v[180:181], v[192:193], v[114:115]
	v_mul_f64 v[114:115], v[190:191], v[114:115]
	s_delay_alu instid0(VALU_DEP_2) | instskip(NEXT) | instid1(VALU_DEP_2)
	v_fma_f64 v[190:191], v[190:191], v[112:113], -v[180:181]
	v_fma_f64 v[192:193], v[192:193], v[112:113], v[114:115]
	s_waitcnt vmcnt(0) lgkmcnt(0)
	v_mul_f64 v[112:113], v[196:197], v[188:189]
	v_mul_f64 v[114:115], v[194:195], v[188:189]
	s_delay_alu instid0(VALU_DEP_2) | instskip(NEXT) | instid1(VALU_DEP_2)
	v_fma_f64 v[112:113], v[194:195], v[186:187], -v[112:113]
	v_fma_f64 v[114:115], v[196:197], v[186:187], v[114:115]
	global_load_b128 v[186:189], v[146:147], off offset:1808
	ds_load_b128 v[194:197], v200 offset:20736
	s_waitcnt vmcnt(0) lgkmcnt(0)
	v_mul_f64 v[146:147], v[196:197], v[188:189]
	v_mul_f64 v[180:181], v[194:195], v[188:189]
	s_delay_alu instid0(VALU_DEP_2) | instskip(NEXT) | instid1(VALU_DEP_2)
	v_fma_f64 v[194:195], v[194:195], v[186:187], -v[146:147]
	v_fma_f64 v[196:197], v[196:197], v[186:187], v[180:181]
	ds_store_b128 v200, v[88:91]
	ds_store_b128 v200, v[92:95] offset:1296
	ds_store_b128 v200, v[104:107] offset:2592
	;; [unrolled: 1-line block ×16, first 2 shown]
	s_and_saveexec_b32 s1, vcc_lo
	s_cbranch_execz .LBB0_9
; %bb.8:
	s_clause 0x2
	global_load_b128 v[108:111], v[116:117], off offset:816
	global_load_b128 v[104:107], v[116:117], off offset:2112
	;; [unrolled: 1-line block ×3, first 2 shown]
	v_add_co_u32 v118, s0, 0x1000, v116
	s_delay_alu instid0(VALU_DEP_1)
	v_add_co_ci_u32_e64 v119, s0, 0, v117, s0
	v_add_co_u32 v130, s0, 0x2000, v116
	s_clause 0x2
	global_load_b128 v[88:91], v[118:119], off offset:608
	global_load_b128 v[112:115], v[118:119], off offset:1904
	;; [unrolled: 1-line block ×3, first 2 shown]
	v_add_co_ci_u32_e64 v131, s0, 0, v117, s0
	s_clause 0x2
	global_load_b128 v[122:125], v[130:131], off offset:400
	global_load_b128 v[126:129], v[130:131], off offset:1696
	;; [unrolled: 1-line block ×3, first 2 shown]
	v_add_co_u32 v146, s0, 0x3000, v116
	s_delay_alu instid0(VALU_DEP_1)
	v_add_co_ci_u32_e64 v147, s0, 0, v117, s0
	s_clause 0x2
	global_load_b128 v[134:137], v[146:147], off offset:192
	global_load_b128 v[138:141], v[146:147], off offset:1488
	;; [unrolled: 1-line block ×3, first 2 shown]
	v_add_co_u32 v150, s0, 0x4000, v116
	s_delay_alu instid0(VALU_DEP_1) | instskip(SKIP_1) | instid1(VALU_DEP_1)
	v_add_co_ci_u32_e64 v151, s0, 0, v117, s0
	v_add_co_u32 v116, s0, 0x5000, v116
	v_add_co_ci_u32_e64 v117, s0, 0, v117, s0
	s_clause 0x4
	global_load_b128 v[146:149], v[146:147], off offset:4080
	global_load_b128 v[176:179], v[150:151], off offset:1280
	;; [unrolled: 1-line block ×5, first 2 shown]
	ds_load_b128 v[192:195], v200 offset:816
	ds_load_b128 v[196:199], v200 offset:2112
	;; [unrolled: 1-line block ×6, first 2 shown]
	s_waitcnt vmcnt(16) lgkmcnt(5)
	v_mul_f64 v[116:117], v[194:195], v[110:111]
	v_mul_f64 v[110:111], v[192:193], v[110:111]
	s_waitcnt vmcnt(15) lgkmcnt(4)
	v_mul_f64 v[150:151], v[198:199], v[106:107]
	v_mul_f64 v[220:221], v[196:197], v[106:107]
	;; [unrolled: 3-line block ×5, first 2 shown]
	v_fma_f64 v[106:107], v[192:193], v[108:109], -v[116:117]
	v_fma_f64 v[108:109], v[194:195], v[108:109], v[110:111]
	ds_load_b128 v[114:117], v200 offset:8592
	ds_load_b128 v[192:195], v200 offset:9888
	v_fma_f64 v[196:197], v[196:197], v[104:105], -v[150:151]
	v_fma_f64 v[198:199], v[198:199], v[104:105], v[220:221]
	s_waitcnt vmcnt(11) lgkmcnt(2)
	v_mul_f64 v[104:105], v[218:219], v[120:121]
	ds_load_b128 v[220:223], v200 offset:11184
	v_fma_f64 v[90:91], v[204:205], v[92:93], -v[224:225]
	v_fma_f64 v[92:93], v[206:207], v[92:93], v[94:95]
	ds_load_b128 v[204:207], v200 offset:12480
	v_mul_f64 v[120:121], v[216:217], v[120:121]
	v_fma_f64 v[208:209], v[208:209], v[88:89], -v[226:227]
	v_fma_f64 v[210:211], v[210:211], v[88:89], v[228:229]
	v_fma_f64 v[110:111], v[212:213], v[112:113], -v[230:231]
	v_fma_f64 v[112:113], v[214:215], v[112:113], v[232:233]
	ds_load_b128 v[212:215], v200 offset:13776
	ds_load_b128 v[224:227], v200 offset:15072
	;; [unrolled: 1-line block ×3, first 2 shown]
	s_waitcnt vmcnt(10) lgkmcnt(6)
	v_mul_f64 v[94:95], v[116:117], v[124:125]
	v_mul_f64 v[124:125], v[114:115], v[124:125]
	s_waitcnt vmcnt(9) lgkmcnt(5)
	v_mul_f64 v[88:89], v[194:195], v[128:129]
	v_mul_f64 v[128:129], v[192:193], v[128:129]
	;; [unrolled: 3-line block ×4, first 2 shown]
	v_fma_f64 v[216:217], v[216:217], v[118:119], -v[104:105]
	v_mul_f64 v[104:105], v[206:207], v[136:137]
	v_mul_f64 v[136:137], v[204:205], v[136:137]
	v_fma_f64 v[218:219], v[218:219], v[118:119], v[120:121]
	v_fma_f64 v[114:115], v[114:115], v[122:123], -v[94:95]
	s_waitcnt vmcnt(5) lgkmcnt(1)
	v_mul_f64 v[94:95], v[226:227], v[144:145]
	v_fma_f64 v[116:117], v[116:117], v[122:123], v[124:125]
	ds_load_b128 v[122:125], v200 offset:16368
	v_fma_f64 v[118:119], v[192:193], v[126:127], -v[88:89]
	v_fma_f64 v[120:121], v[194:195], v[126:127], v[128:129]
	ds_load_b128 v[126:129], v200 offset:17664
	v_fma_f64 v[192:193], v[220:221], v[130:131], -v[150:151]
	v_fma_f64 v[194:195], v[222:223], v[130:131], v[132:133]
	ds_load_b128 v[130:133], v200 offset:20256
	ds_load_b128 v[220:223], v200 offset:21552
	v_mul_f64 v[144:145], v[224:225], v[144:145]
	v_fma_f64 v[204:205], v[204:205], v[134:135], -v[104:105]
	s_waitcnt vmcnt(4) lgkmcnt(3)
	v_mul_f64 v[88:89], v[124:125], v[148:149]
	v_mul_f64 v[104:105], v[122:123], v[148:149]
	s_waitcnt vmcnt(3) lgkmcnt(2)
	v_mul_f64 v[148:149], v[128:129], v[178:179]
	v_mul_f64 v[150:151], v[126:127], v[178:179]
	s_waitcnt vmcnt(2)
	v_mul_f64 v[178:179], v[230:231], v[182:183]
	v_mul_f64 v[182:183], v[228:229], v[182:183]
	v_fma_f64 v[206:207], v[206:207], v[134:135], v[136:137]
	v_fma_f64 v[134:135], v[212:213], v[138:139], -v[232:233]
	s_waitcnt vmcnt(1) lgkmcnt(1)
	v_mul_f64 v[212:213], v[132:133], v[186:187]
	v_mul_f64 v[186:187], v[130:131], v[186:187]
	v_fma_f64 v[136:137], v[214:215], v[138:139], v[140:141]
	v_fma_f64 v[138:139], v[224:225], v[142:143], -v[94:95]
	s_waitcnt vmcnt(0) lgkmcnt(0)
	v_mul_f64 v[94:95], v[222:223], v[190:191]
	v_mul_f64 v[190:191], v[220:221], v[190:191]
	v_fma_f64 v[140:141], v[226:227], v[142:143], v[144:145]
	v_fma_f64 v[122:123], v[122:123], v[146:147], -v[88:89]
	v_fma_f64 v[124:125], v[124:125], v[146:147], v[104:105]
	v_fma_f64 v[126:127], v[126:127], v[176:177], -v[148:149]
	;; [unrolled: 2-line block ×5, first 2 shown]
	v_fma_f64 v[148:149], v[222:223], v[188:189], v[190:191]
	ds_store_b128 v200, v[106:109] offset:816
	ds_store_b128 v200, v[196:199] offset:2112
	;; [unrolled: 1-line block ×17, first 2 shown]
.LBB0_9:
	s_or_b32 exec_lo, exec_lo, s1
	s_waitcnt lgkmcnt(0)
	s_barrier
	buffer_gl0_inv
	ds_load_b128 v[116:119], v200
	ds_load_b128 v[184:187], v200 offset:1296
	ds_load_b128 v[4:7], v200 offset:2592
	;; [unrolled: 1-line block ×16, first 2 shown]
	s_and_saveexec_b32 s0, vcc_lo
	s_cbranch_execz .LBB0_11
; %bb.10:
	ds_load_b128 v[0:3], v200 offset:816
	s_waitcnt lgkmcnt(0)
	scratch_store_b128 off, v[0:3], off offset:1356 ; 16-byte Folded Spill
	ds_load_b128 v[0:3], v200 offset:2112
	s_waitcnt lgkmcnt(0)
	scratch_store_b128 off, v[0:3], off offset:1372 ; 16-byte Folded Spill
	;; [unrolled: 3-line block ×17, first 2 shown]
.LBB0_11:
	s_or_b32 exec_lo, exec_lo, s0
	s_waitcnt lgkmcnt(15)
	v_add_f64 v[188:189], v[116:117], v[184:185]
	v_add_f64 v[190:191], v[118:119], v[186:187]
	s_waitcnt lgkmcnt(0)
	v_add_f64 v[192:193], v[186:187], -v[10:11]
	v_add_f64 v[198:199], v[184:185], v[8:9]
	v_add_f64 v[196:197], v[186:187], v[10:11]
	v_add_f64 v[194:195], v[184:185], -v[8:9]
	v_add_f64 v[0:1], v[142:143], v[150:151]
	s_mov_b32 s28, 0x5d8e7cdc
	s_mov_b32 s34, 0x7c9e640b
	;; [unrolled: 1-line block ×31, first 2 shown]
	v_add_f64 v[188:189], v[188:189], v[4:5]
	v_add_f64 v[190:191], v[190:191], v[6:7]
	v_mul_f64 v[204:205], v[192:193], s[28:29]
	v_mul_f64 v[206:207], v[192:193], s[38:39]
	;; [unrolled: 1-line block ×8, first 2 shown]
	scratch_store_b64 off, v[0:1], off offset:1548 ; 8-byte Folded Spill
	v_add_f64 v[0:1], v[142:143], -v[150:151]
	v_add_f64 v[192:193], v[178:179], -v[130:131]
	v_mul_f64 v[224:225], v[196:197], s[18:19]
	v_mul_f64 v[238:239], v[196:197], s[22:23]
	;; [unrolled: 1-line block ×3, first 2 shown]
	s_mov_b32 s43, 0x3fe58eea
	s_mov_b32 s45, 0x3feca52d
	s_mov_b32 s51, 0x3fefdd0d
	s_mov_b32 s49, 0x3feec746
	s_mov_b32 s47, 0x3fe9895b
	s_mov_b32 s53, 0x3fe0d888
	s_mov_b32 s55, 0x3fc7851a
	s_mov_b32 s40, s28
	s_mov_b32 s42, s38
	s_mov_b32 s44, s34
	s_mov_b32 s50, s26
	s_mov_b32 s48, s36
	s_mov_b32 s46, s16
	s_mov_b32 s52, s12
	s_mov_b32 s54, s14
	scratch_store_b128 off, v[8:11], off offset:1532 ; 16-byte Folded Spill
	v_add_f64 v[188:189], v[188:189], v[112:113]
	v_add_f64 v[190:191], v[190:191], v[114:115]
	v_fma_f64 v[226:227], v[198:199], s[0:1], v[204:205]
	v_fma_f64 v[204:205], v[198:199], s[0:1], -v[204:205]
	v_fma_f64 v[228:229], v[198:199], s[2:3], v[206:207]
	v_fma_f64 v[206:207], v[198:199], s[2:3], -v[206:207]
	;; [unrolled: 2-line block ×4, first 2 shown]
	v_fma_f64 v[234:235], v[198:199], s[30:31], v[212:213]
	scratch_store_b64 off, v[0:1], off offset:1556 ; 8-byte Folded Spill
	v_add_f64 v[0:1], v[134:135], v[138:139]
	v_fma_f64 v[212:213], v[198:199], s[30:31], -v[212:213]
	v_fma_f64 v[236:237], v[198:199], s[22:23], v[214:215]
	v_fma_f64 v[214:215], v[198:199], s[22:23], -v[214:215]
	v_fma_f64 v[248:249], v[194:195], s[50:51], v[224:225]
	v_fma_f64 v[224:225], v[194:195], s[26:27], v[224:225]
	;; [unrolled: 1-line block ×6, first 2 shown]
	v_mul_f64 v[168:169], v[192:193], s[14:15]
	v_mul_f64 v[170:171], v[192:193], s[48:49]
	;; [unrolled: 1-line block ×6, first 2 shown]
	v_add_f64 v[188:189], v[188:189], v[176:177]
	v_add_f64 v[190:191], v[190:191], v[178:179]
	;; [unrolled: 1-line block ×9, first 2 shown]
	scratch_store_b64 off, v[0:1], off offset:1564 ; 8-byte Folded Spill
	v_add_f64 v[212:213], v[116:117], v[212:213]
	v_add_f64 v[236:237], v[116:117], v[236:237]
	;; [unrolled: 1-line block ×8, first 2 shown]
	s_delay_alu instid0(VALU_DEP_2) | instskip(NEXT) | instid1(VALU_DEP_2)
	v_add_f64 v[188:189], v[188:189], v[140:141]
	v_add_f64 v[190:191], v[190:191], v[142:143]
	s_delay_alu instid0(VALU_DEP_2) | instskip(NEXT) | instid1(VALU_DEP_2)
	v_add_f64 v[188:189], v[188:189], v[132:133]
	v_add_f64 v[190:191], v[190:191], v[134:135]
	v_add_f64 v[134:135], v[134:135], -v[138:139]
	s_delay_alu instid0(VALU_DEP_3) | instskip(NEXT) | instid1(VALU_DEP_3)
	v_add_f64 v[188:189], v[188:189], v[162:163]
	v_add_f64 v[190:191], v[190:191], v[164:165]
	s_delay_alu instid0(VALU_DEP_2) | instskip(NEXT) | instid1(VALU_DEP_2)
	v_add_f64 v[188:189], v[188:189], v[16:17]
	v_add_f64 v[190:191], v[190:191], v[18:19]
	s_delay_alu instid0(VALU_DEP_2) | instskip(NEXT) | instid1(VALU_DEP_2)
	v_add_f64 v[188:189], v[188:189], v[136:137]
	v_add_f64 v[190:191], v[190:191], v[138:139]
	;; [unrolled: 1-line block ×3, first 2 shown]
	v_add_f64 v[132:133], v[132:133], -v[136:137]
	v_mul_f64 v[136:137], v[196:197], s[0:1]
	v_add_f64 v[184:185], v[188:189], v[148:149]
	v_add_f64 v[186:187], v[190:191], v[150:151]
	;; [unrolled: 1-line block ×5, first 2 shown]
	v_mul_f64 v[150:151], v[196:197], s[2:3]
	v_fma_f64 v[242:243], v[194:195], s[40:41], v[136:137]
	v_fma_f64 v[136:137], v[194:195], s[28:29], v[136:137]
	v_add_f64 v[216:217], v[184:185], v[180:181]
	v_add_f64 v[218:219], v[186:187], v[182:183]
	v_add_f64 v[186:187], v[176:177], -v[128:129]
	v_add_f64 v[184:185], v[144:145], v[180:181]
	v_add_f64 v[176:177], v[144:145], -v[180:181]
	v_add_f64 v[180:181], v[146:147], -v[182:183]
	v_mul_f64 v[182:183], v[196:197], s[8:9]
	v_fma_f64 v[244:245], v[194:195], s[42:43], v[150:151]
	v_fma_f64 v[150:151], v[194:195], s[38:39], v[150:151]
	v_add_f64 v[136:137], v[118:119], v[136:137]
	v_add_f64 v[144:145], v[140:141], v[148:149]
	v_add_f64 v[140:141], v[140:141], -v[148:149]
	v_dual_mov_b32 v149, v19 :: v_dual_mov_b32 v148, v18
	v_dual_mov_b32 v147, v17 :: v_dual_mov_b32 v146, v16
	v_fma_f64 v[104:105], v[190:191], s[30:31], v[170:171]
	v_fma_f64 v[106:107], v[190:191], s[30:31], -v[170:171]
	v_fma_f64 v[170:171], v[190:191], s[0:1], v[172:173]
	v_fma_f64 v[172:173], v[190:191], s[0:1], -v[172:173]
	;; [unrolled: 2-line block ×5, first 2 shown]
	v_add_f64 v[128:129], v[216:217], v[128:129]
	v_add_f64 v[130:131], v[218:219], v[130:131]
	v_fma_f64 v[216:217], v[198:199], s[20:21], v[220:221]
	v_fma_f64 v[218:219], v[198:199], s[20:21], -v[220:221]
	v_fma_f64 v[220:221], v[198:199], s[24:25], v[222:223]
	v_fma_f64 v[198:199], v[198:199], s[24:25], -v[222:223]
	v_mul_f64 v[222:223], v[196:197], s[30:31]
	v_mul_f64 v[196:197], v[196:197], s[24:25]
	v_fma_f64 v[246:247], v[194:195], s[44:45], v[182:183]
	v_fma_f64 v[182:183], v[194:195], s[34:35], v[182:183]
	v_add_f64 v[150:151], v[118:119], v[150:151]
	v_add_f64 v[20:21], v[116:117], v[216:217]
	;; [unrolled: 1-line block ×4, first 2 shown]
	v_fma_f64 v[250:251], v[194:195], s[48:49], v[222:223]
	v_fma_f64 v[222:223], v[194:195], s[36:37], v[222:223]
	;; [unrolled: 1-line block ×4, first 2 shown]
	v_add_f64 v[194:195], v[116:117], v[226:227]
	v_add_f64 v[196:197], v[118:119], v[242:243]
	;; [unrolled: 1-line block ×10, first 2 shown]
	v_add_f64 v[114:115], v[114:115], -v[126:127]
	v_add_f64 v[126:127], v[130:131], v[126:127]
	v_add_f64 v[130:131], v[4:5], v[120:121]
	;; [unrolled: 1-line block ×9, first 2 shown]
	v_add_f64 v[112:113], v[112:113], -v[124:125]
	v_add_f64 v[124:125], v[128:129], v[124:125]
	v_add_f64 v[128:129], v[6:7], -v[122:123]
	v_add_f64 v[254:255], v[4:5], -v[120:121]
	v_mul_f64 v[84:85], v[198:199], s[22:23]
	v_mul_f64 v[56:57], v[114:115], s[16:17]
	;; [unrolled: 1-line block ×19, first 2 shown]
	v_add_f64 v[0:1], v[124:125], v[120:121]
	v_mul_f64 v[120:121], v[128:129], s[38:39]
	v_mul_f64 v[124:125], v[128:129], s[16:17]
	v_mul_f64 v[4:5], v[128:129], s[52:53]
	v_mul_f64 v[6:7], v[128:129], s[48:49]
	v_mul_f64 v[8:9], v[128:129], s[44:45]
	v_mul_f64 v[10:11], v[128:129], s[40:41]
	v_fma_f64 v[154:155], v[112:113], s[46:47], v[84:85]
	v_fma_f64 v[72:73], v[118:119], s[24:25], v[58:59]
	v_fma_f64 v[58:59], v[118:119], s[24:25], -v[58:59]
	v_fma_f64 v[74:75], v[118:119], s[30:31], v[60:61]
	v_fma_f64 v[60:61], v[118:119], s[30:31], -v[60:61]
	v_fma_f64 v[44:45], v[254:255], s[54:55], v[30:31]
	v_fma_f64 v[30:31], v[254:255], s[14:15], v[30:31]
	;; [unrolled: 1-line block ×11, first 2 shown]
	v_fma_f64 v[62:63], v[118:119], s[2:3], -v[62:63]
	v_fma_f64 v[78:79], v[118:119], s[0:1], v[64:65]
	v_fma_f64 v[64:65], v[118:119], s[0:1], -v[64:65]
	v_fma_f64 v[80:81], v[118:119], s[18:19], v[66:67]
	v_fma_f64 v[66:67], v[118:119], s[18:19], -v[66:67]
	v_fma_f64 v[84:85], v[112:113], s[16:17], v[84:85]
	v_fma_f64 v[156:157], v[112:113], s[14:15], v[86:87]
	v_fma_f64 v[86:87], v[112:113], s[54:55], v[86:87]
	;; [unrolled: 1-line block ×8, first 2 shown]
	scratch_store_b64 off, v[0:1], off offset:1516 ; 8-byte Folded Spill
	v_add_f64 v[0:1], v[126:127], v[122:123]
	v_mul_f64 v[122:123], v[128:129], s[26:27]
	v_mul_f64 v[126:127], v[128:129], s[14:15]
	scratch_store_b64 off, v[20:21], off offset:1572 ; 8-byte Folded Spill
	v_fma_f64 v[128:129], v[130:131], s[2:3], v[120:121]
	v_fma_f64 v[120:121], v[130:131], s[2:3], -v[120:121]
	v_fma_f64 v[20:21], v[130:131], s[30:31], v[6:7]
	v_fma_f64 v[6:7], v[130:131], s[30:31], -v[6:7]
	;; [unrolled: 2-line block ×4, first 2 shown]
	v_add_f64 v[30:31], v[30:31], v[224:225]
	v_add_f64 v[46:47], v[46:47], v[246:247]
	;; [unrolled: 1-line block ×9, first 2 shown]
	scratch_store_b64 off, v[0:1], off offset:1524 ; 8-byte Folded Spill
	v_fma_f64 v[12:13], v[130:131], s[18:19], v[122:123]
	v_fma_f64 v[14:15], v[130:131], s[18:19], -v[122:123]
	v_fma_f64 v[122:123], v[130:131], s[22:23], v[124:125]
	v_fma_f64 v[124:125], v[130:131], s[22:23], -v[124:125]
	;; [unrolled: 2-line block ×4, first 2 shown]
	v_mul_f64 v[130:131], v[252:253], s[18:19]
	v_fma_f64 v[252:253], v[254:255], s[42:43], v[26:27]
	v_fma_f64 v[26:27], v[254:255], s[38:39], v[26:27]
	;; [unrolled: 1-line block ×4, first 2 shown]
	v_add_f64 v[128:129], v[128:129], v[194:195]
	v_add_f64 v[120:121], v[120:121], v[204:205]
	;; [unrolled: 1-line block ×3, first 2 shown]
	v_mul_f64 v[194:195], v[188:189], s[30:31]
	v_mul_f64 v[204:205], v[188:189], s[20:21]
	v_add_f64 v[20:21], v[20:21], v[236:237]
	v_add_f64 v[52:53], v[2:3], v[52:53]
	;; [unrolled: 1-line block ×9, first 2 shown]
	v_mul_f64 v[96:97], v[180:181], s[28:29]
	v_mul_f64 v[98:99], v[180:181], s[16:17]
	v_add_f64 v[36:37], v[102:103], v[36:37]
	v_mul_f64 v[102:103], v[178:179], s[22:23]
	v_add_f64 v[12:13], v[12:13], v[226:227]
	v_add_f64 v[14:15], v[14:15], v[206:207]
	v_mul_f64 v[206:207], v[188:189], s[22:23]
	v_add_f64 v[124:125], v[124:125], v[208:209]
	v_add_f64 v[16:17], v[16:17], v[232:233]
	;; [unrolled: 1-line block ×5, first 2 shown]
	v_fma_f64 v[40:41], v[254:255], s[50:51], v[130:131]
	v_fma_f64 v[42:43], v[254:255], s[26:27], v[130:131]
	;; [unrolled: 1-line block ×4, first 2 shown]
	v_mul_f64 v[254:255], v[114:115], s[34:35]
	v_mul_f64 v[114:115], v[114:115], s[12:13]
	v_add_f64 v[26:27], v[26:27], v[136:137]
	v_add_f64 v[136:137], v[202:203], v[248:249]
	v_mul_f64 v[202:203], v[188:189], s[8:9]
	v_fma_f64 v[212:213], v[186:187], s[36:37], v[194:195]
	v_fma_f64 v[194:195], v[186:187], s[48:49], v[194:195]
	;; [unrolled: 1-line block ×4, first 2 shown]
	v_add_f64 v[6:7], v[64:65], v[6:7]
	v_mul_f64 v[64:65], v[180:181], s[36:37]
	v_add_f64 v[34:35], v[100:101], v[34:35]
	v_add_f64 v[122:123], v[122:123], v[230:231]
	;; [unrolled: 1-line block ×3, first 2 shown]
	v_mul_f64 v[78:79], v[180:181], s[34:35]
	v_add_f64 v[8:9], v[66:67], v[8:9]
	v_fma_f64 v[226:227], v[186:187], s[16:17], v[206:207]
	v_fma_f64 v[206:207], v[186:187], s[46:47], v[206:207]
	v_add_f64 v[16:17], v[74:75], v[16:17]
	v_mul_f64 v[74:75], v[180:181], s[52:53]
	v_add_f64 v[18:19], v[60:61], v[18:19]
	v_add_f64 v[60:61], v[76:77], v[126:127]
	;; [unrolled: 1-line block ×4, first 2 shown]
	v_mul_f64 v[150:151], v[188:189], s[18:19]
	v_add_f64 v[28:29], v[28:29], v[182:183]
	v_fma_f64 v[68:69], v[118:119], s[8:9], v[254:255]
	v_fma_f64 v[70:71], v[118:119], s[8:9], -v[254:255]
	v_fma_f64 v[254:255], v[118:119], s[22:23], v[56:57]
	v_fma_f64 v[56:57], v[118:119], s[22:23], -v[56:57]
	;; [unrolled: 2-line block ×3, first 2 shown]
	v_mul_f64 v[118:119], v[198:199], s[8:9]
	v_mul_f64 v[198:199], v[198:199], s[20:21]
	;; [unrolled: 1-line block ×3, first 2 shown]
	v_fma_f64 v[222:223], v[186:187], s[44:45], v[202:203]
	v_fma_f64 v[202:203], v[186:187], s[34:35], v[202:203]
	;; [unrolled: 1-line block ×3, first 2 shown]
	v_fma_f64 v[64:65], v[184:185], s[30:31], -v[64:65]
	v_add_f64 v[4:5], v[62:63], v[4:5]
	v_add_f64 v[6:7], v[88:89], v[6:7]
	v_mul_f64 v[88:89], v[178:179], s[24:25]
	v_add_f64 v[62:63], v[0:1], v[136:137]
	v_add_f64 v[130:131], v[130:131], v[242:243]
	;; [unrolled: 1-line block ×3, first 2 shown]
	v_mul_f64 v[76:77], v[180:181], s[42:43]
	v_add_f64 v[20:21], v[174:175], v[20:21]
	v_fma_f64 v[124:125], v[184:185], s[0:1], v[96:97]
	v_fma_f64 v[96:97], v[184:185], s[0:1], -v[96:97]
	v_add_f64 v[8:9], v[90:91], v[8:9]
	v_fma_f64 v[126:127], v[184:185], s[22:23], v[98:99]
	v_add_f64 v[34:35], v[204:205], v[34:35]
	v_fma_f64 v[136:137], v[176:177], s[46:47], v[102:103]
	v_fma_f64 v[98:99], v[184:185], s[22:23], -v[98:99]
	v_fma_f64 v[102:103], v[176:177], s[16:17], v[102:103]
	v_add_f64 v[36:37], v[206:207], v[36:37]
	v_add_f64 v[16:17], v[170:171], v[16:17]
	v_fma_f64 v[110:111], v[184:185], s[20:21], v[74:75]
	v_fma_f64 v[74:75], v[184:185], s[20:21], -v[74:75]
	v_add_f64 v[48:49], v[48:49], v[60:61]
	v_mul_f64 v[60:61], v[178:179], s[30:31]
	v_add_f64 v[42:43], v[84:85], v[42:43]
	v_fma_f64 v[208:209], v[186:187], s[50:51], v[150:151]
	v_fma_f64 v[150:151], v[186:187], s[26:27], v[150:151]
	v_add_f64 v[68:69], v[68:69], v[128:129]
	v_add_f64 v[70:71], v[70:71], v[120:121]
	v_mul_f64 v[84:85], v[180:181], s[14:15]
	v_add_f64 v[14:15], v[56:57], v[14:15]
	v_add_f64 v[56:57], v[72:73], v[122:123]
	v_add_f64 v[12:13], v[254:255], v[12:13]
	v_fma_f64 v[152:153], v[112:113], s[44:45], v[118:119]
	v_fma_f64 v[118:119], v[112:113], s[34:35], v[118:119]
	;; [unrolled: 1-line block ×4, first 2 shown]
	v_mul_f64 v[198:199], v[192:193], s[26:27]
	v_mul_f64 v[192:193], v[192:193], s[42:43]
	v_fma_f64 v[210:211], v[186:187], s[54:55], v[182:183]
	v_fma_f64 v[182:183], v[186:187], s[14:15], v[182:183]
	v_add_f64 v[28:29], v[86:87], v[28:29]
	v_add_f64 v[24:25], v[82:83], v[24:25]
	;; [unrolled: 1-line block ×4, first 2 shown]
	v_mul_f64 v[86:87], v[180:181], s[50:51]
	v_add_f64 v[10:11], v[114:115], v[10:11]
	v_add_f64 v[46:47], v[222:223], v[46:47]
	v_fma_f64 v[114:115], v[176:177], s[54:55], v[88:89]
	v_add_f64 v[50:51], v[224:225], v[62:63]
	v_mul_f64 v[62:63], v[178:179], s[20:21]
	v_mul_f64 v[82:83], v[178:179], s[8:9]
	v_add_f64 v[72:73], v[156:157], v[130:131]
	v_add_f64 v[58:59], v[106:107], v[58:59]
	;; [unrolled: 1-line block ×3, first 2 shown]
	v_fma_f64 v[116:117], v[184:185], s[2:3], v[76:77]
	v_fma_f64 v[76:77], v[184:185], s[2:3], -v[76:77]
	v_add_f64 v[32:33], v[202:203], v[32:33]
	v_fma_f64 v[88:89], v[176:177], s[14:15], v[88:89]
	v_add_f64 v[8:9], v[96:97], v[8:9]
	v_fma_f64 v[120:121], v[184:185], s[24:25], v[84:85]
	v_fma_f64 v[84:85], v[184:185], s[24:25], -v[84:85]
	v_add_f64 v[56:57], v[104:105], v[56:57]
	v_fma_f64 v[104:105], v[176:177], s[48:49], v[60:61]
	v_fma_f64 v[60:61], v[176:177], s[36:37], v[60:61]
	v_add_f64 v[26:27], v[118:119], v[26:27]
	v_add_f64 v[54:55], v[166:167], v[54:55]
	v_fma_f64 v[118:119], v[184:185], s[8:9], v[78:79]
	v_fma_f64 v[92:93], v[190:191], s[18:19], v[198:199]
	v_fma_f64 v[94:95], v[190:191], s[18:19], -v[198:199]
	v_fma_f64 v[198:199], v[190:191], s[24:25], v[168:169]
	v_fma_f64 v[168:169], v[190:191], s[24:25], -v[168:169]
	;; [unrolled: 2-line block ×3, first 2 shown]
	v_add_f64 v[192:193], v[252:253], v[196:197]
	v_mul_f64 v[196:197], v[188:189], s[0:1]
	v_mul_f64 v[188:189], v[188:189], s[2:3]
	v_fma_f64 v[78:79], v[184:185], s[8:9], -v[78:79]
	v_add_f64 v[28:29], v[194:195], v[28:29]
	v_fma_f64 v[122:123], v[184:185], s[18:19], v[86:87]
	v_fma_f64 v[86:87], v[184:185], s[18:19], -v[86:87]
	v_add_f64 v[46:47], v[114:115], v[46:47]
	v_add_f64 v[42:43], v[182:183], v[42:43]
	v_fma_f64 v[106:107], v[176:177], s[12:13], v[62:63]
	v_fma_f64 v[62:63], v[176:177], s[52:53], v[62:63]
	v_add_f64 v[38:39], v[112:113], v[38:39]
	v_fma_f64 v[112:113], v[176:177], s[44:45], v[82:83]
	v_fma_f64 v[82:83], v[176:177], s[34:35], v[82:83]
	v_add_f64 v[72:73], v[212:213], v[72:73]
	v_add_f64 v[40:41], v[210:211], v[40:41]
	;; [unrolled: 1-line block ×14, first 2 shown]
	v_mul_f64 v[92:93], v[178:179], s[18:19]
	v_add_f64 v[108:109], v[152:153], v[192:193]
	v_fma_f64 v[214:215], v[186:187], s[28:29], v[196:197]
	v_fma_f64 v[196:197], v[186:187], s[40:41], v[196:197]
	;; [unrolled: 1-line block ×4, first 2 shown]
	scratch_load_b64 v[188:189], off, off offset:1572 ; 8-byte Folded Reload
	v_add_f64 v[18:19], v[78:79], v[18:19]
	v_add_f64 v[6:7], v[86:87], v[6:7]
	v_mul_f64 v[94:95], v[178:179], s[0:1]
	v_add_f64 v[20:21], v[122:123], v[20:21]
	v_add_f64 v[42:43], v[62:63], v[42:43]
	;; [unrolled: 1-line block ×6, first 2 shown]
	scratch_load_b64 v[70:71], off, off offset:1556 ; 8-byte Folded Reload
	v_add_f64 v[14:15], v[74:75], v[14:15]
	scratch_load_b64 v[74:75], off, off offset:1548 ; 8-byte Folded Reload
	v_add_f64 v[12:13], v[110:111], v[12:13]
	v_add_f64 v[68:69], v[208:209], v[108:109]
	;; [unrolled: 1-line block ×5, first 2 shown]
	v_fma_f64 v[128:129], v[176:177], s[26:27], v[92:93]
	v_fma_f64 v[92:93], v[176:177], s[50:51], v[92:93]
	v_add_f64 v[2:3], v[126:127], v[2:3]
	v_add_f64 v[38:39], v[186:187], v[38:39]
	v_fma_f64 v[130:131], v[176:177], s[40:41], v[94:95]
	v_fma_f64 v[94:95], v[176:177], s[28:29], v[94:95]
	v_add_f64 v[10:11], v[98:99], v[10:11]
	v_add_f64 v[54:55], v[104:105], v[68:69]
	;; [unrolled: 1-line block ×9, first 2 shown]
	s_waitcnt vmcnt(2)
	v_add_f64 v[22:23], v[22:23], v[188:189]
	s_waitcnt vmcnt(1)
	v_mul_f64 v[68:69], v[70:71], s[48:49]
	v_mul_f64 v[62:63], v[70:71], s[16:17]
	s_waitcnt vmcnt(0)
	v_dual_mov_b32 v85, v75 :: v_dual_mov_b32 v84, v74
	v_dual_mov_b32 v83, v71 :: v_dual_mov_b32 v82, v70
	v_add_f64 v[22:23], v[80:81], v[22:23]
	v_mul_f64 v[80:81], v[178:179], s[2:3]
	s_delay_alu instid0(VALU_DEP_3)
	v_mul_f64 v[76:77], v[82:83], s[28:29]
	v_fma_f64 v[78:79], v[144:145], s[30:31], v[68:69]
	v_fma_f64 v[70:71], v[144:145], s[22:23], v[62:63]
	v_fma_f64 v[62:63], v[144:145], s[22:23], -v[62:63]
	v_fma_f64 v[68:69], v[144:145], s[30:31], -v[68:69]
	v_add_f64 v[0:1], v[142:143], v[22:23]
	v_fma_f64 v[108:109], v[176:177], s[38:39], v[80:81]
	v_fma_f64 v[80:81], v[176:177], s[42:43], v[80:81]
	v_add_f64 v[22:23], v[226:227], v[52:53]
	v_add_f64 v[52:53], v[100:101], v[66:67]
	v_mul_f64 v[66:67], v[74:75], s[22:23]
	v_add_f64 v[12:13], v[78:79], v[12:13]
	v_add_f64 v[62:63], v[62:63], v[64:65]
	v_mul_f64 v[64:65], v[84:85], s[20:21]
	v_add_f64 v[14:15], v[68:69], v[14:15]
	v_add_f64 v[0:1], v[124:125], v[0:1]
	v_add_f64 v[60:61], v[108:109], v[72:73]
	v_add_f64 v[28:29], v[80:81], v[28:29]
	v_mul_f64 v[80:81], v[84:85], s[0:1]
	v_mul_f64 v[72:73], v[74:75], s[30:31]
	v_fma_f64 v[74:75], v[140:141], s[46:47], v[66:67]
	v_fma_f64 v[66:67], v[140:141], s[16:17], v[66:67]
	v_add_f64 v[52:53], v[70:71], v[52:53]
	v_add_f64 v[22:23], v[130:131], v[22:23]
	v_fma_f64 v[78:79], v[140:141], s[40:41], v[80:81]
	v_fma_f64 v[80:81], v[140:141], s[28:29], v[80:81]
	;; [unrolled: 1-line block ×3, first 2 shown]
	v_add_f64 v[54:55], v[74:75], v[54:55]
	v_mul_f64 v[74:75], v[82:83], s[12:13]
	v_fma_f64 v[72:73], v[140:141], s[48:49], v[72:73]
	v_add_f64 v[26:27], v[66:67], v[26:27]
	v_fma_f64 v[66:67], v[144:145], s[0:1], v[76:77]
	v_fma_f64 v[76:77], v[144:145], s[0:1], -v[76:77]
	v_add_f64 v[60:61], v[78:79], v[60:61]
	v_add_f64 v[28:29], v[80:81], v[28:29]
	v_mul_f64 v[80:81], v[84:85], s[18:19]
	v_add_f64 v[40:41], v[70:71], v[40:41]
	v_mul_f64 v[70:71], v[82:83], s[50:51]
	v_add_f64 v[42:43], v[72:73], v[42:43]
	v_fma_f64 v[68:69], v[144:145], s[20:21], v[74:75]
	v_fma_f64 v[72:73], v[140:141], s[52:53], v[64:65]
	v_add_f64 v[56:57], v[66:67], v[56:57]
	v_mul_f64 v[66:67], v[82:83], s[38:39]
	v_fma_f64 v[74:75], v[144:145], s[20:21], -v[74:75]
	v_mul_f64 v[78:79], v[82:83], s[14:15]
	v_add_f64 v[58:59], v[76:77], v[58:59]
	v_fma_f64 v[64:65], v[140:141], s[12:13], v[64:65]
	v_mul_f64 v[82:83], v[82:83], s[44:45]
	v_fma_f64 v[86:87], v[140:141], s[26:27], v[80:81]
	v_fma_f64 v[80:81], v[140:141], s[50:51], v[80:81]
	;; [unrolled: 1-line block ×3, first 2 shown]
	v_add_f64 v[16:17], v[68:69], v[16:17]
	v_add_f64 v[44:45], v[72:73], v[44:45]
	v_fma_f64 v[68:69], v[144:145], s[18:19], -v[70:71]
	v_fma_f64 v[72:73], v[144:145], s[2:3], v[66:67]
	v_add_f64 v[18:19], v[74:75], v[18:19]
	v_mul_f64 v[70:71], v[84:85], s[2:3]
	v_fma_f64 v[74:75], v[144:145], s[24:25], -v[78:79]
	v_add_f64 v[30:31], v[64:65], v[30:31]
	v_fma_f64 v[64:65], v[144:145], s[24:25], v[78:79]
	v_fma_f64 v[78:79], v[144:145], s[8:9], v[82:83]
	v_fma_f64 v[66:67], v[144:145], s[2:3], -v[66:67]
	v_fma_f64 v[82:83], v[144:145], s[8:9], -v[82:83]
	v_add_f64 v[46:47], v[86:87], v[46:47]
	scratch_load_b64 v[86:87], off, off offset:1564 ; 8-byte Folded Reload
	v_add_f64 v[48:49], v[76:77], v[48:49]
	v_mul_f64 v[76:77], v[84:85], s[24:25]
	v_mul_f64 v[84:85], v[84:85], s[8:9]
	v_add_f64 v[32:33], v[80:81], v[32:33]
	v_add_f64 v[4:5], v[68:69], v[4:5]
	v_mul_f64 v[68:69], v[134:135], s[12:13]
	v_add_f64 v[20:21], v[72:73], v[20:21]
	v_fma_f64 v[88:89], v[140:141], s[42:43], v[70:71]
	v_add_f64 v[8:9], v[74:75], v[8:9]
	v_fma_f64 v[70:71], v[140:141], s[38:39], v[70:71]
	v_add_f64 v[0:1], v[64:65], v[0:1]
	v_add_f64 v[2:3], v[78:79], v[2:3]
	;; [unrolled: 1-line block ×3, first 2 shown]
	v_mul_f64 v[66:67], v[134:135], s[44:45]
	v_add_f64 v[10:11], v[82:83], v[10:11]
	v_fma_f64 v[90:91], v[140:141], s[54:55], v[76:77]
	v_fma_f64 v[92:93], v[140:141], s[34:35], v[84:85]
	;; [unrolled: 1-line block ×4, first 2 shown]
	v_add_f64 v[50:51], v[88:89], v[50:51]
	v_mul_f64 v[88:89], v[134:135], s[46:47]
	v_add_f64 v[34:35], v[70:71], v[34:35]
	v_mul_f64 v[70:71], v[134:135], s[26:27]
	;; [unrolled: 2-line block ×3, first 2 shown]
	v_add_f64 v[24:25], v[92:93], v[24:25]
	v_add_f64 v[36:37], v[76:77], v[36:37]
	v_fma_f64 v[76:77], v[138:139], s[8:9], v[66:67]
	v_fma_f64 v[66:67], v[138:139], s[8:9], -v[66:67]
	v_add_f64 v[38:39], v[84:85], v[38:39]
	v_fma_f64 v[82:83], v[138:139], s[18:19], v[70:71]
	v_fma_f64 v[70:71], v[138:139], s[18:19], -v[70:71]
	v_fma_f64 v[98:99], v[138:139], s[30:31], v[90:91]
	v_fma_f64 v[100:101], v[138:139], s[30:31], -v[90:91]
	v_add_f64 v[12:13], v[76:77], v[12:13]
	v_add_f64 v[14:15], v[66:67], v[14:15]
	v_add_f64 v[66:67], v[164:165], -v[148:149]
	v_add_f64 v[76:77], v[164:165], v[148:149]
	v_add_f64 v[56:57], v[82:83], v[56:57]
	;; [unrolled: 1-line block ×6, first 2 shown]
	v_mul_f64 v[70:71], v[76:77], s[24:25]
	v_mul_f64 v[122:123], v[76:77], s[20:21]
	s_waitcnt vmcnt(0)
	v_mul_f64 v[72:73], v[86:87], s[20:21]
	v_mul_f64 v[80:81], v[86:87], s[8:9]
	v_dual_mov_b32 v105, v87 :: v_dual_mov_b32 v104, v86
	v_fma_f64 v[86:87], v[138:139], s[20:21], v[68:69]
	v_fma_f64 v[68:69], v[138:139], s[20:21], -v[68:69]
	s_delay_alu instid0(VALU_DEP_3)
	v_mul_f64 v[90:91], v[104:105], s[24:25]
	v_mul_f64 v[64:65], v[104:105], s[18:19]
	;; [unrolled: 1-line block ×4, first 2 shown]
	v_fma_f64 v[74:75], v[132:133], s[52:53], v[72:73]
	v_fma_f64 v[78:79], v[132:133], s[34:35], v[80:81]
	;; [unrolled: 1-line block ×4, first 2 shown]
	v_add_f64 v[52:53], v[86:87], v[52:53]
	v_mul_f64 v[86:87], v[134:135], s[28:29]
	v_add_f64 v[62:63], v[68:69], v[62:63]
	v_mul_f64 v[68:69], v[134:135], s[42:43]
	v_fma_f64 v[110:111], v[132:133], s[54:55], v[90:91]
	v_fma_f64 v[112:113], v[132:133], s[14:15], v[90:91]
	;; [unrolled: 1-line block ×8, first 2 shown]
	v_add_f64 v[54:55], v[74:75], v[54:55]
	v_mul_f64 v[74:75], v[134:135], s[14:15]
	v_add_f64 v[40:41], v[78:79], v[40:41]
	v_add_f64 v[42:43], v[80:81], v[42:43]
	v_fma_f64 v[78:79], v[138:139], s[22:23], v[88:89]
	v_fma_f64 v[80:81], v[138:139], s[22:23], -v[88:89]
	v_fma_f64 v[88:89], v[138:139], s[0:1], v[86:87]
	v_add_f64 v[26:27], v[72:73], v[26:27]
	v_mul_f64 v[72:73], v[104:105], s[22:23]
	v_fma_f64 v[86:87], v[138:139], s[0:1], -v[86:87]
	v_add_f64 v[60:61], v[84:85], v[60:61]
	v_add_f64 v[84:85], v[162:163], -v[146:147]
	v_add_f64 v[28:29], v[64:65], v[28:29]
	v_mul_f64 v[64:65], v[66:67], s[14:15]
	v_mul_f64 v[104:105], v[104:105], s[30:31]
	v_fma_f64 v[96:97], v[138:139], s[2:3], v[68:69]
	v_fma_f64 v[68:69], v[138:139], s[2:3], -v[68:69]
	v_add_f64 v[32:33], v[94:95], v[32:33]
	v_add_f64 v[46:47], v[108:109], v[46:47]
	;; [unrolled: 1-line block ×6, first 2 shown]
	v_fma_f64 v[92:93], v[138:139], s[24:25], v[74:75]
	v_fma_f64 v[74:75], v[138:139], s[24:25], -v[74:75]
	v_add_f64 v[16:17], v[78:79], v[16:17]
	v_add_f64 v[18:19], v[80:81], v[18:19]
	;; [unrolled: 1-line block ×3, first 2 shown]
	v_mul_f64 v[78:79], v[76:77], s[0:1]
	v_fma_f64 v[106:107], v[132:133], s[16:17], v[72:73]
	v_fma_f64 v[72:73], v[132:133], s[46:47], v[72:73]
	v_add_f64 v[4:5], v[86:87], v[4:5]
	v_fma_f64 v[86:87], v[84:85], s[54:55], v[70:71]
	v_fma_f64 v[70:71], v[84:85], s[14:15], v[70:71]
	;; [unrolled: 1-line block ×5, first 2 shown]
	v_add_f64 v[0:1], v[96:97], v[0:1]
	v_add_f64 v[8:9], v[68:69], v[8:9]
	v_mul_f64 v[96:97], v[76:77], s[22:23]
	v_add_f64 v[20:21], v[92:93], v[20:21]
	s_clause 0x1
	scratch_load_b64 v[88:89], off, off offset:1516
	scratch_load_b128 v[90:93], off, off offset:1532
	v_add_f64 v[6:7], v[74:75], v[6:7]
	v_mul_f64 v[74:75], v[66:67], s[12:13]
	v_add_f64 v[44:45], v[106:107], v[44:45]
	v_add_f64 v[30:31], v[72:73], v[30:31]
	v_mul_f64 v[72:73], v[66:67], s[40:41]
	v_add_f64 v[94:95], v[86:87], v[54:55]
	v_mul_f64 v[54:55], v[76:77], s[2:3]
	v_fma_f64 v[106:107], v[84:85], s[28:29], v[78:79]
	v_add_f64 v[24:25], v[116:117], v[24:25]
	v_add_f64 v[38:39], v[120:121], v[38:39]
	v_fma_f64 v[78:79], v[84:85], s[40:41], v[78:79]
	v_add_f64 v[126:127], v[70:71], v[26:27]
	v_fma_f64 v[104:105], v[82:83], s[0:1], v[72:73]
	v_fma_f64 v[86:87], v[84:85], s[38:39], v[54:55]
	v_add_f64 v[106:107], v[106:107], v[40:41]
	v_mul_f64 v[40:41], v[66:67], s[16:17]
	v_fma_f64 v[54:55], v[84:85], s[42:43], v[54:55]
	v_add_f64 v[130:131], v[78:79], v[42:43]
	v_add_f64 v[104:105], v[104:105], v[12:13]
	v_fma_f64 v[12:13], v[84:85], s[52:53], v[122:123]
	v_add_f64 v[114:115], v[86:87], v[44:45]
	v_mul_f64 v[44:45], v[76:77], s[8:9]
	v_fma_f64 v[86:87], v[84:85], s[16:17], v[96:97]
	v_add_f64 v[138:139], v[54:55], v[30:31]
	v_add_f64 v[110:111], v[12:13], v[60:61]
	v_mul_f64 v[12:13], v[66:67], s[44:45]
	v_mul_f64 v[60:61], v[66:67], s[36:37]
	v_add_f64 v[142:143], v[86:87], v[32:33]
	s_waitcnt vmcnt(0)
	v_add_f64 v[88:89], v[88:89], v[90:91]
	scratch_load_b64 v[90:91], off, off offset:1524 ; 8-byte Folded Reload
	s_waitcnt vmcnt(0)
	s_waitcnt_vscnt null, 0x0
	s_barrier
	buffer_gl0_inv
	v_add_f64 v[90:91], v[90:91], v[92:93]
	v_add_f64 v[92:93], v[80:81], v[52:53]
	v_mul_f64 v[52:53], v[66:67], s[42:43]
	v_fma_f64 v[80:81], v[82:83], s[20:21], v[74:75]
	v_mul_f64 v[66:67], v[66:67], s[50:51]
	s_delay_alu instid0(VALU_DEP_3) | instskip(NEXT) | instid1(VALU_DEP_3)
	v_fma_f64 v[68:69], v[82:83], s[2:3], v[52:53]
	v_add_f64 v[108:109], v[80:81], v[56:57]
	v_fma_f64 v[56:57], v[82:83], s[22:23], v[40:41]
	v_fma_f64 v[80:81], v[82:83], s[8:9], v[12:13]
	v_fma_f64 v[52:53], v[82:83], s[2:3], -v[52:53]
	v_fma_f64 v[40:41], v[82:83], s[22:23], -v[40:41]
	;; [unrolled: 1-line block ×3, first 2 shown]
	v_add_f64 v[112:113], v[68:69], v[16:17]
	v_fma_f64 v[16:17], v[84:85], s[46:47], v[96:97]
	v_mul_f64 v[68:69], v[76:77], s[30:31]
	v_mul_f64 v[76:77], v[76:77], s[18:19]
	v_add_f64 v[116:117], v[56:57], v[48:49]
	v_fma_f64 v[48:49], v[82:83], s[0:1], -v[72:73]
	v_fma_f64 v[56:57], v[82:83], s[20:21], -v[74:75]
	v_fma_f64 v[74:75], v[82:83], s[18:19], v[66:67]
	v_fma_f64 v[66:67], v[82:83], s[18:19], -v[66:67]
	v_fma_f64 v[96:97], v[84:85], s[12:13], v[122:123]
	v_add_f64 v[120:121], v[80:81], v[20:21]
	v_add_f64 v[144:145], v[12:13], v[6:7]
	;; [unrolled: 1-line block ×5, first 2 shown]
	v_fma_f64 v[16:17], v[84:85], s[34:35], v[44:45]
	v_fma_f64 v[46:47], v[82:83], s[24:25], -v[64:65]
	v_fma_f64 v[64:65], v[82:83], s[30:31], v[60:61]
	v_fma_f64 v[72:73], v[84:85], s[48:49], v[68:69]
	v_fma_f64 v[60:61], v[82:83], s[30:31], -v[60:61]
	v_fma_f64 v[82:83], v[84:85], s[26:27], v[76:77]
	v_fma_f64 v[76:77], v[84:85], s[50:51], v[76:77]
	;; [unrolled: 1-line block ×4, first 2 shown]
	v_add_f64 v[180:181], v[74:75], v[2:3]
	v_add_f64 v[184:185], v[66:67], v[10:11]
	v_add_f64 v[132:133], v[56:57], v[58:59]
	v_add_f64 v[134:135], v[96:97], v[28:29]
	v_add_f64 v[128:129], v[48:49], v[14:15]
	v_add_f64 v[122:123], v[16:17], v[50:51]
	v_add_f64 v[124:125], v[46:47], v[62:63]
	v_add_f64 v[148:149], v[64:65], v[0:1]
	v_add_f64 v[150:151], v[72:73], v[22:23]
	v_add_f64 v[176:177], v[60:61], v[8:9]
	v_add_f64 v[182:183], v[82:83], v[24:25]
	v_add_f64 v[186:187], v[76:77], v[38:39]
	v_add_f64 v[178:179], v[68:69], v[36:37]
	v_add_f64 v[146:147], v[44:45], v[34:35]
	ds_store_b128 v201, v[88:91]
	ds_store_b128 v201, v[92:95] offset:16
	ds_store_b128 v201, v[104:107] offset:32
	;; [unrolled: 1-line block ×16, first 2 shown]
	s_and_saveexec_b32 s33, vcc_lo
	s_cbranch_execz .LBB0_13
; %bb.12:
	s_clause 0x10
	scratch_load_b128 v[138:141], off, off offset:1356
	scratch_load_b128 v[60:63], off, off offset:1372
	;; [unrolled: 1-line block ×17, first 2 shown]
	s_waitcnt vmcnt(15)
	v_add_f64 v[0:1], v[140:141], v[62:63]
	v_add_f64 v[2:3], v[138:139], v[60:61]
	s_waitcnt vmcnt(8)
	v_add_f64 v[84:85], v[78:79], -v[36:37]
	v_add_f64 v[92:93], v[76:77], -v[34:35]
	s_waitcnt vmcnt(6)
	v_add_f64 v[90:91], v[18:19], -v[22:23]
	s_waitcnt vmcnt(5)
	;; [unrolled: 2-line block ×3, first 2 shown]
	v_add_f64 v[108:109], v[100:101], -v[38:39]
	v_add_f64 v[104:105], v[100:101], v[38:39]
	s_waitcnt vmcnt(2)
	v_add_f64 v[12:13], v[68:69], -v[56:57]
	s_waitcnt vmcnt(1)
	v_add_f64 v[6:7], v[62:63], -v[54:55]
	v_add_f64 v[4:5], v[60:61], -v[52:53]
	v_add_f64 v[8:9], v[62:63], v[54:55]
	v_add_f64 v[10:11], v[96:97], -v[44:45]
	v_add_f64 v[88:89], v[20:21], -v[24:25]
	v_add_f64 v[82:83], v[20:21], v[24:25]
	v_add_f64 v[80:81], v[18:19], v[22:23]
	v_add_f64 v[86:87], v[74:75], -v[32:33]
	v_add_f64 v[106:107], v[102:103], -v[40:41]
	v_add_f64 v[110:111], v[102:103], v[40:41]
	s_waitcnt vmcnt(0)
	v_add_f64 v[42:43], v[66:67], v[50:51]
	v_add_f64 v[0:1], v[0:1], v[66:67]
	;; [unrolled: 1-line block ×3, first 2 shown]
	v_mul_f64 v[148:149], v[84:85], s[36:37]
	v_mul_f64 v[146:147], v[92:93], s[36:37]
	;; [unrolled: 1-line block ×16, first 2 shown]
	v_add_f64 v[0:1], v[0:1], v[70:71]
	v_add_f64 v[2:3], v[2:3], v[68:69]
	s_delay_alu instid0(VALU_DEP_2) | instskip(NEXT) | instid1(VALU_DEP_2)
	v_add_f64 v[0:1], v[0:1], v[98:99]
	v_add_f64 v[2:3], v[2:3], v[96:97]
	s_delay_alu instid0(VALU_DEP_2) | instskip(NEXT) | instid1(VALU_DEP_2)
	;; [unrolled: 3-line block ×3, first 2 shown]
	v_add_f64 v[0:1], v[0:1], v[74:75]
	v_add_f64 v[2:3], v[2:3], v[72:73]
	;; [unrolled: 1-line block ×4, first 2 shown]
	s_delay_alu instid0(VALU_DEP_4) | instskip(NEXT) | instid1(VALU_DEP_4)
	v_add_f64 v[0:1], v[0:1], v[78:79]
	v_add_f64 v[2:3], v[2:3], v[76:77]
	;; [unrolled: 1-line block ×4, first 2 shown]
	s_delay_alu instid0(VALU_DEP_4) | instskip(NEXT) | instid1(VALU_DEP_4)
	v_add_f64 v[0:1], v[0:1], v[20:21]
	v_add_f64 v[2:3], v[2:3], v[18:19]
	v_mul_f64 v[18:19], v[4:5], s[16:17]
	v_add_f64 v[20:21], v[64:65], -v[48:49]
	s_delay_alu instid0(VALU_DEP_4) | instskip(NEXT) | instid1(VALU_DEP_4)
	v_add_f64 v[0:1], v[0:1], v[24:25]
	v_add_f64 v[2:3], v[2:3], v[22:23]
	v_mul_f64 v[22:23], v[4:5], s[36:37]
	v_mul_f64 v[24:25], v[4:5], s[26:27]
	;; [unrolled: 1-line block ×6, first 2 shown]
	v_add_f64 v[0:1], v[0:1], v[36:37]
	v_add_f64 v[2:3], v[2:3], v[34:35]
	;; [unrolled: 1-line block ×3, first 2 shown]
	v_mul_f64 v[60:61], v[6:7], s[26:27]
	v_add_f64 v[34:35], v[66:67], -v[50:51]
	v_fma_f64 v[66:67], v[8:9], s[20:21], v[16:17]
	v_fma_f64 v[16:17], v[8:9], s[20:21], -v[16:17]
	v_fma_f64 v[100:101], v[8:9], s[0:1], -v[4:5]
	v_fma_f64 v[4:5], v[8:9], s[0:1], v[4:5]
	v_fma_f64 v[162:163], v[42:43], s[24:25], v[154:155]
	v_fma_f64 v[154:155], v[42:43], s[24:25], -v[154:155]
	v_fma_f64 v[164:165], v[42:43], s[22:23], -v[156:157]
	v_fma_f64 v[156:157], v[42:43], s[22:23], v[156:157]
	v_fma_f64 v[166:167], v[42:43], s[18:19], -v[158:159]
	v_fma_f64 v[158:159], v[42:43], s[18:19], v[158:159]
	v_add_f64 v[0:1], v[0:1], v[32:33]
	v_add_f64 v[2:3], v[2:3], v[30:31]
	v_add_f64 v[30:31], v[98:99], -v[46:47]
	v_add_f64 v[32:33], v[70:71], -v[58:59]
	v_fma_f64 v[118:119], v[36:37], s[18:19], -v[60:61]
	v_fma_f64 v[60:61], v[36:37], s[18:19], v[60:61]
	v_fma_f64 v[120:121], v[36:37], s[8:9], v[62:63]
	v_fma_f64 v[62:63], v[36:37], s[8:9], -v[62:63]
	v_add_f64 v[66:67], v[140:141], v[66:67]
	v_add_f64 v[16:17], v[140:141], v[16:17]
	;; [unrolled: 1-line block ×4, first 2 shown]
	v_mul_f64 v[170:171], v[34:35], s[14:15]
	v_mul_f64 v[172:173], v[34:35], s[16:17]
	;; [unrolled: 1-line block ×3, first 2 shown]
	v_add_f64 v[0:1], v[0:1], v[40:41]
	v_add_f64 v[2:3], v[2:3], v[38:39]
	;; [unrolled: 1-line block ×4, first 2 shown]
	v_fma_f64 v[70:71], v[8:9], s[30:31], v[22:23]
	v_fma_f64 v[22:23], v[8:9], s[30:31], -v[22:23]
	v_fma_f64 v[98:99], v[8:9], s[18:19], v[24:25]
	v_fma_f64 v[24:25], v[8:9], s[18:19], -v[24:25]
	v_add_f64 v[134:135], v[138:139], v[60:61]
	v_mul_f64 v[60:61], v[12:13], s[12:13]
	v_add_f64 v[136:137], v[138:139], v[62:63]
	v_mul_f64 v[62:63], v[32:33], s[12:13]
	v_add_f64 v[118:119], v[138:139], v[118:119]
	v_add_f64 v[120:121], v[138:139], v[120:121]
	v_mul_f64 v[203:204], v[32:33], s[48:49]
	v_mul_f64 v[205:206], v[32:33], s[54:55]
	v_mul_f64 v[207:208], v[32:33], s[16:17]
	v_add_f64 v[0:1], v[0:1], v[46:47]
	v_add_f64 v[2:3], v[2:3], v[44:45]
	;; [unrolled: 1-line block ×5, first 2 shown]
	v_fma_f64 v[64:65], v[8:9], s[24:25], v[14:15]
	v_fma_f64 v[14:15], v[8:9], s[24:25], -v[14:15]
	v_fma_f64 v[68:69], v[8:9], s[22:23], v[18:19]
	v_fma_f64 v[18:19], v[8:9], s[22:23], -v[18:19]
	v_add_f64 v[130:131], v[140:141], v[70:71]
	v_mul_f64 v[70:71], v[30:31], s[42:43]
	v_add_f64 v[22:23], v[140:141], v[22:23]
	v_add_f64 v[98:99], v[140:141], v[98:99]
	;; [unrolled: 1-line block ×3, first 2 shown]
	v_fma_f64 v[194:195], v[40:41], s[30:31], v[186:187]
	v_fma_f64 v[186:187], v[40:41], s[30:31], -v[186:187]
	v_fma_f64 v[196:197], v[40:41], s[24:25], -v[188:189]
	v_fma_f64 v[188:189], v[40:41], s[24:25], v[188:189]
	v_fma_f64 v[198:199], v[40:41], s[22:23], -v[190:191]
	v_fma_f64 v[190:191], v[40:41], s[22:23], v[190:191]
	v_fma_f64 v[227:228], v[38:39], s[0:1], v[219:220]
	v_fma_f64 v[219:220], v[38:39], s[0:1], -v[219:220]
	v_fma_f64 v[229:230], v[38:39], s[30:31], -v[221:222]
	v_fma_f64 v[221:222], v[38:39], s[30:31], v[221:222]
	v_fma_f64 v[231:232], v[38:39], s[24:25], -v[223:224]
	v_fma_f64 v[223:224], v[38:39], s[24:25], v[223:224]
	v_add_f64 v[0:1], v[0:1], v[58:59]
	v_add_f64 v[2:3], v[2:3], v[56:57]
	v_mul_f64 v[56:57], v[6:7], s[16:17]
	v_mul_f64 v[58:59], v[6:7], s[36:37]
	v_fma_f64 v[178:179], v[96:97], s[24:25], -v[170:171]
	v_fma_f64 v[170:171], v[96:97], s[24:25], v[170:171]
	v_add_f64 v[14:15], v[140:141], v[14:15]
	v_add_f64 v[68:69], v[140:141], v[68:69]
	;; [unrolled: 1-line block ×3, first 2 shown]
	v_fma_f64 v[180:181], v[96:97], s[22:23], v[172:173]
	v_fma_f64 v[172:173], v[96:97], s[22:23], -v[172:173]
	v_fma_f64 v[182:183], v[96:97], s[18:19], v[174:175]
	v_fma_f64 v[174:175], v[96:97], s[18:19], -v[174:175]
	v_fma_f64 v[211:212], v[46:47], s[30:31], -v[203:204]
	v_fma_f64 v[203:204], v[46:47], s[30:31], v[203:204]
	v_fma_f64 v[213:214], v[46:47], s[24:25], v[205:206]
	v_fma_f64 v[205:206], v[46:47], s[24:25], -v[205:206]
	v_fma_f64 v[215:216], v[46:47], s[22:23], v[207:208]
	v_fma_f64 v[207:208], v[46:47], s[22:23], -v[207:208]
	v_add_f64 v[98:99], v[162:163], v[98:99]
	v_add_f64 v[24:25], v[154:155], v[24:25]
	;; [unrolled: 1-line block ×4, first 2 shown]
	v_mul_f64 v[48:49], v[6:7], s[14:15]
	v_fma_f64 v[114:115], v[36:37], s[22:23], -v[56:57]
	v_fma_f64 v[56:57], v[36:37], s[22:23], v[56:57]
	v_mul_f64 v[50:51], v[6:7], s[12:13]
	v_fma_f64 v[116:117], v[36:37], s[30:31], -v[58:59]
	v_fma_f64 v[58:59], v[36:37], s[30:31], v[58:59]
	v_add_f64 v[118:119], v[178:179], v[118:119]
	v_add_f64 v[120:121], v[180:181], v[120:121]
	;; [unrolled: 1-line block ×5, first 2 shown]
	v_fma_f64 v[0:1], v[8:9], s[8:9], -v[26:27]
	v_fma_f64 v[2:3], v[8:9], s[2:3], -v[28:29]
	v_fma_f64 v[26:27], v[8:9], s[8:9], v[26:27]
	v_fma_f64 v[28:29], v[8:9], s[2:3], v[28:29]
	v_mul_f64 v[8:9], v[6:7], s[38:39]
	v_mul_f64 v[6:7], v[6:7], s[28:29]
	v_fma_f64 v[102:103], v[36:37], s[24:25], -v[48:49]
	v_fma_f64 v[48:49], v[36:37], s[24:25], v[48:49]
	v_add_f64 v[128:129], v[138:139], v[56:57]
	v_mul_f64 v[56:57], v[20:21], s[40:41]
	v_fma_f64 v[112:113], v[36:37], s[20:21], -v[50:51]
	v_fma_f64 v[50:51], v[36:37], s[20:21], v[50:51]
	v_add_f64 v[132:133], v[138:139], v[58:59]
	v_mul_f64 v[58:59], v[34:35], s[40:41]
	v_add_f64 v[114:115], v[138:139], v[114:115]
	v_add_f64 v[116:117], v[138:139], v[116:117]
	;; [unrolled: 1-line block ×7, first 2 shown]
	v_fma_f64 v[122:123], v[36:37], s[2:3], v[8:9]
	v_fma_f64 v[8:9], v[36:37], s[2:3], -v[8:9]
	v_fma_f64 v[124:125], v[36:37], s[0:1], v[6:7]
	v_fma_f64 v[6:7], v[36:37], s[0:1], -v[6:7]
	v_add_f64 v[36:37], v[140:141], v[64:65]
	v_add_f64 v[64:65], v[138:139], v[102:103]
	;; [unrolled: 1-line block ×3, first 2 shown]
	v_fma_f64 v[48:49], v[42:43], s[0:1], v[56:57]
	v_add_f64 v[126:127], v[138:139], v[50:51]
	v_fma_f64 v[50:51], v[40:41], s[20:21], v[60:61]
	v_fma_f64 v[56:57], v[42:43], s[0:1], -v[56:57]
	v_add_f64 v[112:113], v[138:139], v[112:113]
	v_mul_f64 v[140:141], v[106:107], s[16:17]
	v_add_f64 v[0:1], v[164:165], v[0:1]
	v_add_f64 v[2:3], v[166:167], v[2:3]
	;; [unrolled: 1-line block ×8, first 2 shown]
	v_mul_f64 v[138:139], v[108:109], s[16:17]
	v_add_f64 v[36:37], v[48:49], v[36:37]
	v_fma_f64 v[48:49], v[96:97], s[0:1], -v[58:59]
	v_add_f64 v[14:15], v[56:57], v[14:15]
	v_fma_f64 v[56:57], v[96:97], s[0:1], v[58:59]
	v_fma_f64 v[58:59], v[40:41], s[20:21], -v[60:61]
	v_add_f64 v[0:1], v[196:197], v[0:1]
	v_add_f64 v[2:3], v[198:199], v[2:3]
	;; [unrolled: 1-line block ×7, first 2 shown]
	v_fma_f64 v[50:51], v[46:47], s[20:21], -v[62:63]
	v_mul_f64 v[64:65], v[10:11], s[42:43]
	v_add_f64 v[56:57], v[56:57], v[102:103]
	v_add_f64 v[14:15], v[58:59], v[14:15]
	v_fma_f64 v[58:59], v[46:47], s[20:21], v[62:63]
	v_mul_f64 v[102:103], v[10:11], s[46:47]
	v_add_f64 v[0:1], v[229:230], v[0:1]
	v_add_f64 v[2:3], v[231:232], v[2:3]
	;; [unrolled: 1-line block ×6, first 2 shown]
	v_fma_f64 v[50:51], v[38:39], s[2:3], v[64:65]
	v_add_f64 v[56:57], v[58:59], v[56:57]
	v_fma_f64 v[58:59], v[38:39], s[2:3], -v[64:65]
	v_mul_f64 v[64:65], v[34:35], s[44:45]
	s_delay_alu instid0(VALU_DEP_4) | instskip(SKIP_1) | instid1(VALU_DEP_4)
	v_add_f64 v[36:37], v[50:51], v[36:37]
	v_fma_f64 v[50:51], v[44:45], s[2:3], -v[70:71]
	v_add_f64 v[14:15], v[58:59], v[14:15]
	v_fma_f64 v[58:59], v[44:45], s[2:3], v[70:71]
	v_fma_f64 v[60:61], v[96:97], s[8:9], -v[64:65]
	v_mul_f64 v[70:71], v[32:33], s[26:27]
	v_add_f64 v[48:49], v[50:51], v[48:49]
	v_fma_f64 v[50:51], v[110:111], s[22:23], v[138:139]
	v_add_f64 v[56:57], v[58:59], v[56:57]
	v_fma_f64 v[58:59], v[110:111], s[22:23], -v[138:139]
	v_add_f64 v[60:61], v[60:61], v[112:113]
	v_mul_f64 v[112:113], v[30:31], s[46:47]
	v_mul_f64 v[138:139], v[108:109], s[28:29]
	v_add_f64 v[36:37], v[50:51], v[36:37]
	v_fma_f64 v[50:51], v[104:105], s[22:23], -v[140:141]
	v_add_f64 v[14:15], v[58:59], v[14:15]
	v_fma_f64 v[58:59], v[104:105], s[22:23], v[140:141]
	v_mul_f64 v[140:141], v[106:107], s[28:29]
	s_delay_alu instid0(VALU_DEP_4) | instskip(SKIP_1) | instid1(VALU_DEP_4)
	v_add_f64 v[48:49], v[50:51], v[48:49]
	v_fma_f64 v[50:51], v[74:75], s[8:9], v[142:143]
	v_add_f64 v[56:57], v[58:59], v[56:57]
	v_fma_f64 v[58:59], v[74:75], s[8:9], -v[142:143]
	v_mul_f64 v[142:143], v[94:95], s[14:15]
	s_delay_alu instid0(VALU_DEP_4) | instskip(SKIP_1) | instid1(VALU_DEP_4)
	v_add_f64 v[36:37], v[50:51], v[36:37]
	v_fma_f64 v[50:51], v[72:73], s[8:9], -v[144:145]
	v_add_f64 v[14:15], v[58:59], v[14:15]
	v_fma_f64 v[58:59], v[72:73], s[8:9], v[144:145]
	v_mul_f64 v[144:145], v[86:87], s[14:15]
	s_delay_alu instid0(VALU_DEP_4) | instskip(SKIP_1) | instid1(VALU_DEP_4)
	v_add_f64 v[48:49], v[50:51], v[48:49]
	v_fma_f64 v[50:51], v[78:79], s[30:31], v[146:147]
	v_add_f64 v[56:57], v[58:59], v[56:57]
	v_fma_f64 v[58:59], v[78:79], s[30:31], -v[146:147]
	v_mul_f64 v[146:147], v[92:93], s[42:43]
	s_delay_alu instid0(VALU_DEP_4) | instskip(SKIP_1) | instid1(VALU_DEP_4)
	;; [unrolled: 12-line block ×3, first 2 shown]
	v_add_f64 v[50:51], v[50:51], v[36:37]
	v_mul_f64 v[36:37], v[88:89], s[50:51]
	v_add_f64 v[58:59], v[58:59], v[14:15]
	v_mul_f64 v[14:15], v[20:21], s[44:45]
	s_delay_alu instid0(VALU_DEP_3) | instskip(SKIP_1) | instid1(VALU_DEP_2)
	v_fma_f64 v[152:153], v[80:81], s[18:19], -v[36:37]
	v_fma_f64 v[36:37], v[80:81], s[18:19], v[36:37]
	v_add_f64 v[48:49], v[152:153], v[48:49]
	s_delay_alu instid0(VALU_DEP_2) | instskip(SKIP_2) | instid1(VALU_DEP_2)
	v_add_f64 v[56:57], v[36:37], v[56:57]
	v_fma_f64 v[36:37], v[42:43], s[8:9], v[14:15]
	v_fma_f64 v[14:15], v[42:43], s[8:9], -v[14:15]
	v_add_f64 v[36:37], v[36:37], v[66:67]
	v_mul_f64 v[66:67], v[12:13], s[26:27]
	s_delay_alu instid0(VALU_DEP_3) | instskip(SKIP_1) | instid1(VALU_DEP_3)
	v_add_f64 v[14:15], v[14:15], v[16:17]
	v_fma_f64 v[16:17], v[96:97], s[8:9], v[64:65]
	v_fma_f64 v[62:63], v[40:41], s[18:19], v[66:67]
	v_fma_f64 v[64:65], v[40:41], s[18:19], -v[66:67]
	s_delay_alu instid0(VALU_DEP_3) | instskip(SKIP_1) | instid1(VALU_DEP_4)
	v_add_f64 v[16:17], v[16:17], v[126:127]
	v_mul_f64 v[126:127], v[30:31], s[12:13]
	v_add_f64 v[36:37], v[62:63], v[36:37]
	v_fma_f64 v[62:63], v[46:47], s[18:19], -v[70:71]
	v_add_f64 v[14:15], v[64:65], v[14:15]
	v_fma_f64 v[64:65], v[46:47], s[18:19], v[70:71]
	s_delay_alu instid0(VALU_DEP_3) | instskip(SKIP_1) | instid1(VALU_DEP_3)
	v_add_f64 v[60:61], v[62:63], v[60:61]
	v_fma_f64 v[62:63], v[38:39], s[22:23], v[102:103]
	v_add_f64 v[16:17], v[64:65], v[16:17]
	v_fma_f64 v[64:65], v[38:39], s[22:23], -v[102:103]
	v_mul_f64 v[102:103], v[12:13], s[28:29]
	s_delay_alu instid0(VALU_DEP_4) | instskip(SKIP_1) | instid1(VALU_DEP_4)
	v_add_f64 v[36:37], v[62:63], v[36:37]
	v_fma_f64 v[62:63], v[44:45], s[22:23], -v[112:113]
	v_add_f64 v[14:15], v[64:65], v[14:15]
	v_fma_f64 v[64:65], v[44:45], s[22:23], v[112:113]
	v_fma_f64 v[70:71], v[40:41], s[0:1], v[102:103]
	v_mul_f64 v[112:113], v[32:33], s[28:29]
	v_fma_f64 v[102:103], v[40:41], s[0:1], -v[102:103]
	v_add_f64 v[60:61], v[62:63], v[60:61]
	v_fma_f64 v[62:63], v[110:111], s[0:1], v[138:139]
	v_add_f64 v[16:17], v[64:65], v[16:17]
	v_fma_f64 v[64:65], v[110:111], s[0:1], -v[138:139]
	v_mul_f64 v[138:139], v[108:109], s[50:51]
	s_delay_alu instid0(VALU_DEP_4) | instskip(SKIP_1) | instid1(VALU_DEP_4)
	v_add_f64 v[36:37], v[62:63], v[36:37]
	v_fma_f64 v[62:63], v[104:105], s[0:1], -v[140:141]
	v_add_f64 v[14:15], v[64:65], v[14:15]
	v_fma_f64 v[64:65], v[104:105], s[0:1], v[140:141]
	v_mul_f64 v[140:141], v[106:107], s[50:51]
	s_delay_alu instid0(VALU_DEP_4) | instskip(SKIP_1) | instid1(VALU_DEP_4)
	v_add_f64 v[60:61], v[62:63], v[60:61]
	v_fma_f64 v[62:63], v[74:75], s[24:25], v[142:143]
	v_add_f64 v[16:17], v[64:65], v[16:17]
	v_fma_f64 v[64:65], v[74:75], s[24:25], -v[142:143]
	v_mul_f64 v[142:143], v[94:95], s[38:39]
	s_delay_alu instid0(VALU_DEP_4) | instskip(SKIP_1) | instid1(VALU_DEP_4)
	v_add_f64 v[36:37], v[62:63], v[36:37]
	v_fma_f64 v[62:63], v[72:73], s[24:25], -v[144:145]
	v_add_f64 v[14:15], v[64:65], v[14:15]
	v_fma_f64 v[64:65], v[72:73], s[24:25], v[144:145]
	v_mul_f64 v[144:145], v[86:87], s[38:39]
	s_delay_alu instid0(VALU_DEP_4) | instskip(SKIP_1) | instid1(VALU_DEP_4)
	;; [unrolled: 12-line block ×3, first 2 shown]
	v_add_f64 v[60:61], v[62:63], v[60:61]
	v_fma_f64 v[62:63], v[82:83], s[30:31], v[150:151]
	v_add_f64 v[16:17], v[64:65], v[16:17]
	v_fma_f64 v[64:65], v[82:83], s[30:31], -v[150:151]
	v_mul_f64 v[150:151], v[90:91], s[44:45]
	s_delay_alu instid0(VALU_DEP_4) | instskip(SKIP_1) | instid1(VALU_DEP_4)
	v_add_f64 v[62:63], v[62:63], v[36:37]
	v_mul_f64 v[36:37], v[88:89], s[36:37]
	v_add_f64 v[66:67], v[64:65], v[14:15]
	v_mul_f64 v[14:15], v[20:21], s[48:49]
	s_delay_alu instid0(VALU_DEP_3) | instskip(SKIP_1) | instid1(VALU_DEP_2)
	v_fma_f64 v[152:153], v[80:81], s[30:31], -v[36:37]
	v_fma_f64 v[36:37], v[80:81], s[30:31], v[36:37]
	v_add_f64 v[60:61], v[152:153], v[60:61]
	s_delay_alu instid0(VALU_DEP_2) | instskip(SKIP_3) | instid1(VALU_DEP_3)
	v_add_f64 v[64:65], v[36:37], v[16:17]
	v_fma_f64 v[16:17], v[42:43], s[30:31], v[14:15]
	v_mul_f64 v[36:37], v[34:35], s[48:49]
	v_fma_f64 v[14:15], v[42:43], s[30:31], -v[14:15]
	v_add_f64 v[16:17], v[16:17], v[68:69]
	s_delay_alu instid0(VALU_DEP_3) | instskip(SKIP_1) | instid1(VALU_DEP_4)
	v_fma_f64 v[68:69], v[96:97], s[30:31], -v[36:37]
	v_fma_f64 v[36:37], v[96:97], s[30:31], v[36:37]
	v_add_f64 v[14:15], v[14:15], v[18:19]
	s_delay_alu instid0(VALU_DEP_4) | instskip(NEXT) | instid1(VALU_DEP_4)
	v_add_f64 v[16:17], v[70:71], v[16:17]
	v_add_f64 v[68:69], v[68:69], v[114:115]
	v_fma_f64 v[70:71], v[46:47], s[0:1], -v[112:113]
	v_mul_f64 v[114:115], v[10:11], s[12:13]
	v_fma_f64 v[112:113], v[46:47], s[0:1], v[112:113]
	v_add_f64 v[18:19], v[36:37], v[128:129]
	v_mul_f64 v[128:129], v[30:31], s[40:41]
	v_add_f64 v[14:15], v[102:103], v[14:15]
	v_mul_f64 v[102:103], v[108:109], s[42:43]
	v_add_f64 v[68:69], v[70:71], v[68:69]
	v_fma_f64 v[70:71], v[38:39], s[20:21], v[114:115]
	v_fma_f64 v[114:115], v[38:39], s[20:21], -v[114:115]
	v_add_f64 v[18:19], v[112:113], v[18:19]
	v_fma_f64 v[154:155], v[44:45], s[0:1], -v[128:129]
	v_fma_f64 v[128:129], v[44:45], s[0:1], v[128:129]
	v_mul_f64 v[112:113], v[108:109], s[52:53]
	v_add_f64 v[16:17], v[70:71], v[16:17]
	v_fma_f64 v[70:71], v[44:45], s[20:21], -v[126:127]
	v_fma_f64 v[126:127], v[44:45], s[20:21], v[126:127]
	v_add_f64 v[14:15], v[114:115], v[14:15]
	v_mul_f64 v[114:115], v[106:107], s[52:53]
	v_fma_f64 v[156:157], v[110:111], s[20:21], -v[112:113]
	v_fma_f64 v[112:113], v[110:111], s[20:21], v[112:113]
	v_add_f64 v[68:69], v[70:71], v[68:69]
	v_fma_f64 v[70:71], v[110:111], s[18:19], v[138:139]
	v_add_f64 v[18:19], v[126:127], v[18:19]
	v_add_f64 v[2:3], v[156:157], v[2:3]
	;; [unrolled: 1-line block ×3, first 2 shown]
	s_delay_alu instid0(VALU_DEP_4) | instskip(SKIP_1) | instid1(VALU_DEP_1)
	v_add_f64 v[16:17], v[70:71], v[16:17]
	v_fma_f64 v[70:71], v[104:105], s[18:19], -v[140:141]
	v_add_f64 v[68:69], v[70:71], v[68:69]
	v_fma_f64 v[70:71], v[74:75], s[2:3], v[142:143]
	s_delay_alu instid0(VALU_DEP_1) | instskip(SKIP_1) | instid1(VALU_DEP_1)
	v_add_f64 v[16:17], v[70:71], v[16:17]
	v_fma_f64 v[70:71], v[72:73], s[2:3], -v[144:145]
	v_add_f64 v[68:69], v[70:71], v[68:69]
	v_fma_f64 v[70:71], v[78:79], s[24:25], v[146:147]
	s_delay_alu instid0(VALU_DEP_1) | instskip(SKIP_1) | instid1(VALU_DEP_1)
	;; [unrolled: 5-line block ×3, first 2 shown]
	v_add_f64 v[70:71], v[70:71], v[16:17]
	v_mul_f64 v[16:17], v[88:89], s[44:45]
	v_fma_f64 v[152:153], v[80:81], s[8:9], -v[16:17]
	v_fma_f64 v[16:17], v[80:81], s[8:9], v[16:17]
	s_delay_alu instid0(VALU_DEP_2) | instskip(SKIP_2) | instid1(VALU_DEP_2)
	v_add_f64 v[68:69], v[152:153], v[68:69]
	v_mul_f64 v[152:153], v[20:21], s[52:53]
	v_mul_f64 v[20:21], v[20:21], s[38:39]
	v_fma_f64 v[160:161], v[42:43], s[20:21], v[152:153]
	v_fma_f64 v[152:153], v[42:43], s[20:21], -v[152:153]
	s_delay_alu instid0(VALU_DEP_3)
	v_fma_f64 v[168:169], v[42:43], s[2:3], -v[20:21]
	v_fma_f64 v[20:21], v[42:43], s[2:3], v[20:21]
	v_mul_f64 v[42:43], v[34:35], s[52:53]
	v_mul_f64 v[34:35], v[34:35], s[38:39]
	v_add_f64 v[36:37], v[160:161], v[130:131]
	v_mul_f64 v[130:131], v[30:31], s[48:49]
	v_add_f64 v[22:23], v[152:153], v[22:23]
	v_add_f64 v[4:5], v[20:21], v[4:5]
	v_fma_f64 v[176:177], v[96:97], s[20:21], -v[42:43]
	v_fma_f64 v[42:43], v[96:97], s[20:21], v[42:43]
	v_fma_f64 v[184:185], v[96:97], s[2:3], v[34:35]
	v_fma_f64 v[34:35], v[96:97], s[2:3], -v[34:35]
	v_mul_f64 v[96:97], v[12:13], s[42:43]
	v_mul_f64 v[12:13], v[12:13], s[34:35]
	v_fma_f64 v[160:161], v[44:45], s[30:31], v[130:131]
	v_fma_f64 v[130:131], v[44:45], s[30:31], -v[130:131]
	v_add_f64 v[116:117], v[176:177], v[116:117]
	v_add_f64 v[42:43], v[42:43], v[132:133]
	v_mul_f64 v[132:133], v[30:31], s[14:15]
	v_add_f64 v[6:7], v[34:35], v[6:7]
	v_fma_f64 v[192:193], v[40:41], s[2:3], v[96:97]
	v_fma_f64 v[96:97], v[40:41], s[2:3], -v[96:97]
	v_fma_f64 v[201:202], v[40:41], s[8:9], -v[12:13]
	v_fma_f64 v[12:13], v[40:41], s[8:9], v[12:13]
	v_mul_f64 v[40:41], v[32:33], s[42:43]
	v_mul_f64 v[32:33], v[32:33], s[34:35]
	v_fma_f64 v[162:163], v[44:45], s[24:25], v[132:133]
	v_fma_f64 v[132:133], v[44:45], s[24:25], -v[132:133]
	v_add_f64 v[36:37], v[192:193], v[36:37]
	v_add_f64 v[22:23], v[96:97], v[22:23]
	;; [unrolled: 1-line block ×4, first 2 shown]
	v_fma_f64 v[209:210], v[46:47], s[2:3], -v[40:41]
	v_fma_f64 v[40:41], v[46:47], s[2:3], v[40:41]
	v_fma_f64 v[217:218], v[46:47], s[8:9], v[32:33]
	v_fma_f64 v[32:33], v[46:47], s[8:9], -v[32:33]
	v_mul_f64 v[46:47], v[10:11], s[34:35]
	v_mul_f64 v[10:11], v[10:11], s[26:27]
	v_add_f64 v[8:9], v[132:133], v[8:9]
	v_add_f64 v[40:41], v[40:41], v[42:43]
	;; [unrolled: 1-line block ×3, first 2 shown]
	v_mul_f64 v[98:99], v[108:109], s[14:15]
	v_fma_f64 v[225:226], v[38:39], s[8:9], v[46:47]
	v_fma_f64 v[46:47], v[38:39], s[8:9], -v[46:47]
	v_fma_f64 v[233:234], v[38:39], s[18:19], -v[10:11]
	v_fma_f64 v[10:11], v[38:39], s[18:19], v[10:11]
	v_add_f64 v[38:39], v[168:169], v[100:101]
	v_add_f64 v[100:101], v[184:185], v[124:125]
	v_mul_f64 v[124:125], v[30:31], s[34:35]
	v_mul_f64 v[30:31], v[30:31], s[26:27]
	v_add_f64 v[6:7], v[32:33], v[6:7]
	v_fma_f64 v[118:119], v[110:111], s[24:25], v[98:99]
	v_add_f64 v[32:33], v[225:226], v[36:37]
	v_add_f64 v[22:23], v[46:47], v[22:23]
	v_mul_f64 v[46:47], v[106:107], s[34:35]
	v_fma_f64 v[98:99], v[110:111], s[24:25], -v[98:99]
	v_add_f64 v[20:21], v[201:202], v[38:39]
	v_add_f64 v[34:35], v[217:218], v[100:101]
	v_fma_f64 v[152:153], v[44:45], s[8:9], -v[124:125]
	v_fma_f64 v[164:165], v[44:45], s[18:19], v[30:31]
	v_add_f64 v[38:39], v[209:210], v[116:117]
	v_fma_f64 v[124:125], v[44:45], s[8:9], v[124:125]
	v_mul_f64 v[100:101], v[108:109], s[34:35]
	v_fma_f64 v[30:31], v[44:45], s[18:19], -v[30:31]
	v_add_f64 v[44:45], v[182:183], v[122:123]
	v_add_f64 v[122:123], v[170:171], v[134:135]
	;; [unrolled: 1-line block ×3, first 2 shown]
	v_mul_f64 v[108:109], v[108:109], s[36:37]
	v_fma_f64 v[116:117], v[110:111], s[18:19], -v[138:139]
	v_fma_f64 v[138:139], v[110:111], s[2:3], -v[102:103]
	v_fma_f64 v[102:103], v[110:111], s[2:3], v[102:103]
	v_add_f64 v[4:5], v[10:11], v[4:5]
	v_add_f64 v[22:23], v[98:99], v[22:23]
	;; [unrolled: 1-line block ×6, first 2 shown]
	v_mul_f64 v[42:43], v[106:107], s[14:15]
	v_fma_f64 v[136:137], v[110:111], s[8:9], v[100:101]
	v_add_f64 v[36:37], v[124:125], v[40:41]
	v_add_f64 v[40:41], v[154:155], v[96:97]
	v_mul_f64 v[96:97], v[106:107], s[42:43]
	v_mul_f64 v[106:107], v[106:107], s[36:37]
	v_fma_f64 v[100:101], v[110:111], s[8:9], -v[100:101]
	v_fma_f64 v[158:159], v[110:111], s[30:31], -v[108:109]
	v_fma_f64 v[108:109], v[110:111], s[30:31], v[108:109]
	v_add_f64 v[110:111], v[213:214], v[120:121]
	v_add_f64 v[120:121], v[203:204], v[122:123]
	;; [unrolled: 1-line block ×3, first 2 shown]
	v_fma_f64 v[134:135], v[104:105], s[8:9], -v[46:47]
	v_add_f64 v[6:7], v[30:31], v[6:7]
	v_fma_f64 v[124:125], v[104:105], s[18:19], v[140:141]
	v_add_f64 v[14:15], v[116:117], v[14:15]
	v_add_f64 v[44:45], v[215:216], v[44:45]
	v_fma_f64 v[46:47], v[104:105], s[8:9], v[46:47]
	v_fma_f64 v[152:153], v[104:105], s[20:21], v[114:115]
	v_fma_f64 v[114:115], v[104:105], s[20:21], -v[114:115]
	v_add_f64 v[26:27], v[102:103], v[26:27]
	v_mul_f64 v[102:103], v[94:95], s[28:29]
	v_add_f64 v[0:1], v[138:139], v[0:1]
	v_fma_f64 v[126:127], v[104:105], s[24:25], -v[42:43]
	v_fma_f64 v[42:43], v[104:105], s[24:25], v[42:43]
	v_fma_f64 v[140:141], v[104:105], s[2:3], v[96:97]
	;; [unrolled: 1-line block ×3, first 2 shown]
	v_add_f64 v[24:25], v[100:101], v[24:25]
	v_add_f64 v[10:11], v[158:159], v[12:13]
	v_fma_f64 v[96:97], v[104:105], s[2:3], -v[96:97]
	v_fma_f64 v[104:105], v[104:105], s[30:31], -v[106:107]
	v_add_f64 v[106:107], v[160:161], v[110:111]
	v_add_f64 v[110:111], v[128:129], v[120:121]
	;; [unrolled: 1-line block ×5, first 2 shown]
	v_mul_f64 v[108:109], v[86:87], s[28:29]
	v_add_f64 v[44:45], v[162:163], v[44:45]
	v_add_f64 v[8:9], v[114:115], v[8:9]
	;; [unrolled: 1-line block ×4, first 2 shown]
	v_mul_f64 v[38:39], v[94:95], s[16:17]
	v_add_f64 v[12:13], v[154:155], v[20:21]
	v_add_f64 v[20:21], v[118:119], v[32:33]
	;; [unrolled: 1-line block ×5, first 2 shown]
	v_mul_f64 v[104:105], v[92:93], s[26:27]
	v_add_f64 v[46:47], v[46:47], v[110:111]
	v_fma_f64 v[110:111], v[74:75], s[0:1], -v[102:103]
	v_fma_f64 v[102:103], v[74:75], s[0:1], v[102:103]
	v_add_f64 v[96:97], v[96:97], v[120:121]
	v_fma_f64 v[120:121], v[72:73], s[0:1], v[108:109]
	v_add_f64 v[44:45], v[152:153], v[44:45]
	v_fma_f64 v[108:109], v[72:73], s[0:1], -v[108:109]
	v_add_f64 v[106:107], v[140:141], v[106:107]
	v_fma_f64 v[40:41], v[74:75], s[22:23], -v[38:39]
	v_fma_f64 v[38:39], v[74:75], s[22:23], v[38:39]
	v_add_f64 v[0:1], v[110:111], v[0:1]
	v_add_f64 v[26:27], v[102:103], v[26:27]
	v_mul_f64 v[102:103], v[84:85], s[26:27]
	v_add_f64 v[96:97], v[108:109], v[96:97]
	v_fma_f64 v[108:109], v[78:79], s[18:19], -v[104:105]
	v_fma_f64 v[104:105], v[78:79], s[18:19], v[104:105]
	v_add_f64 v[10:11], v[40:41], v[10:11]
	v_mul_f64 v[40:41], v[86:87], s[16:17]
	v_add_f64 v[4:5], v[38:39], v[4:5]
	v_add_f64 v[0:1], v[108:109], v[0:1]
	v_mul_f64 v[108:109], v[88:89], s[40:41]
	v_add_f64 v[26:27], v[104:105], v[26:27]
	v_fma_f64 v[42:43], v[72:73], s[22:23], v[40:41]
	v_fma_f64 v[40:41], v[72:73], s[22:23], -v[40:41]
	s_delay_alu instid0(VALU_DEP_4) | instskip(NEXT) | instid1(VALU_DEP_3)
	v_fma_f64 v[126:127], v[80:81], s[0:1], -v[108:109]
	v_add_f64 v[12:13], v[42:43], v[12:13]
	v_fma_f64 v[42:43], v[74:75], s[2:3], -v[142:143]
	s_delay_alu instid0(VALU_DEP_4) | instskip(SKIP_1) | instid1(VALU_DEP_3)
	v_add_f64 v[6:7], v[40:41], v[6:7]
	v_mul_f64 v[40:41], v[90:91], s[14:15]
	v_add_f64 v[14:15], v[42:43], v[14:15]
	v_fma_f64 v[42:43], v[72:73], s[2:3], v[144:145]
	s_delay_alu instid0(VALU_DEP_1) | instskip(SKIP_1) | instid1(VALU_DEP_1)
	v_add_f64 v[18:19], v[42:43], v[18:19]
	v_mul_f64 v[42:43], v[94:95], s[50:51]
	v_fma_f64 v[98:99], v[74:75], s[18:19], v[42:43]
	v_fma_f64 v[42:43], v[74:75], s[18:19], -v[42:43]
	s_delay_alu instid0(VALU_DEP_2) | instskip(SKIP_1) | instid1(VALU_DEP_3)
	v_add_f64 v[20:21], v[98:99], v[20:21]
	v_mul_f64 v[98:99], v[86:87], s[50:51]
	v_add_f64 v[22:23], v[42:43], v[22:23]
	s_delay_alu instid0(VALU_DEP_2) | instskip(SKIP_1) | instid1(VALU_DEP_2)
	v_fma_f64 v[42:43], v[72:73], s[18:19], v[98:99]
	v_fma_f64 v[100:101], v[72:73], s[18:19], -v[98:99]
	v_add_f64 v[32:33], v[42:43], v[32:33]
	v_mul_f64 v[42:43], v[94:95], s[12:13]
	s_delay_alu instid0(VALU_DEP_3) | instskip(SKIP_1) | instid1(VALU_DEP_3)
	v_add_f64 v[30:31], v[100:101], v[30:31]
	v_mul_f64 v[94:95], v[94:95], s[48:49]
	v_fma_f64 v[98:99], v[74:75], s[20:21], v[42:43]
	v_fma_f64 v[42:43], v[74:75], s[20:21], -v[42:43]
	s_delay_alu instid0(VALU_DEP_3)
	v_fma_f64 v[112:113], v[74:75], s[30:31], -v[94:95]
	v_fma_f64 v[94:95], v[74:75], s[30:31], v[94:95]
	v_mul_f64 v[74:75], v[86:87], s[12:13]
	v_mul_f64 v[86:87], v[86:87], s[48:49]
	v_add_f64 v[34:35], v[98:99], v[34:35]
	v_mul_f64 v[98:99], v[92:93], s[12:13]
	v_add_f64 v[24:25], v[42:43], v[24:25]
	v_add_f64 v[28:29], v[94:95], v[28:29]
	v_fma_f64 v[114:115], v[72:73], s[20:21], -v[74:75]
	v_fma_f64 v[74:75], v[72:73], s[20:21], v[74:75]
	v_add_f64 v[2:3], v[112:113], v[2:3]
	v_fma_f64 v[100:101], v[78:79], s[20:21], -v[98:99]
	s_delay_alu instid0(VALU_DEP_4) | instskip(NEXT) | instid1(VALU_DEP_4)
	v_add_f64 v[36:37], v[114:115], v[36:37]
	v_add_f64 v[46:47], v[74:75], v[46:47]
	v_mul_f64 v[74:75], v[84:85], s[46:47]
	s_delay_alu instid0(VALU_DEP_4) | instskip(SKIP_1) | instid1(VALU_DEP_3)
	v_add_f64 v[10:11], v[100:101], v[10:11]
	v_mul_f64 v[100:101], v[84:85], s[12:13]
	v_fma_f64 v[38:39], v[76:77], s[22:23], v[74:75]
	s_delay_alu instid0(VALU_DEP_2) | instskip(NEXT) | instid1(VALU_DEP_2)
	v_fma_f64 v[116:117], v[76:77], s[20:21], v[100:101]
	v_add_f64 v[38:39], v[38:39], v[46:47]
	v_fma_f64 v[46:47], v[82:83], s[8:9], -v[150:151]
	s_delay_alu instid0(VALU_DEP_3) | instskip(SKIP_1) | instid1(VALU_DEP_1)
	v_add_f64 v[12:13], v[116:117], v[12:13]
	v_fma_f64 v[116:117], v[78:79], s[24:25], -v[146:147]
	v_add_f64 v[14:15], v[116:117], v[14:15]
	v_fma_f64 v[116:117], v[76:77], s[24:25], v[148:149]
	s_delay_alu instid0(VALU_DEP_1) | instskip(SKIP_1) | instid1(VALU_DEP_1)
	v_add_f64 v[18:19], v[116:117], v[18:19]
	v_mul_f64 v[116:117], v[92:93], s[28:29]
	v_fma_f64 v[118:119], v[78:79], s[0:1], v[116:117]
	s_delay_alu instid0(VALU_DEP_1) | instskip(SKIP_2) | instid1(VALU_DEP_2)
	v_add_f64 v[20:21], v[118:119], v[20:21]
	v_mul_f64 v[118:119], v[84:85], s[28:29]
	v_mul_f64 v[84:85], v[84:85], s[44:45]
	v_fma_f64 v[122:123], v[76:77], s[0:1], -v[118:119]
	v_fma_f64 v[94:95], v[76:77], s[0:1], v[118:119]
	s_delay_alu instid0(VALU_DEP_3) | instskip(SKIP_1) | instid1(VALU_DEP_4)
	v_fma_f64 v[112:113], v[76:77], s[8:9], v[84:85]
	v_fma_f64 v[84:85], v[76:77], s[8:9], -v[84:85]
	v_add_f64 v[30:31], v[122:123], v[30:31]
	v_fma_f64 v[122:123], v[72:73], s[30:31], v[86:87]
	v_fma_f64 v[86:87], v[72:73], s[30:31], -v[86:87]
	v_add_f64 v[72:73], v[120:121], v[106:107]
	v_fma_f64 v[106:107], v[78:79], s[0:1], -v[116:117]
	v_add_f64 v[32:33], v[94:95], v[32:33]
	v_mul_f64 v[94:95], v[90:91], s[42:43]
	v_add_f64 v[42:43], v[122:123], v[44:45]
	v_mul_f64 v[44:45], v[92:93], s[46:47]
	v_mul_f64 v[92:93], v[92:93], s[44:45]
	v_add_f64 v[8:9], v[86:87], v[8:9]
	v_add_f64 v[22:23], v[106:107], v[22:23]
	v_mul_f64 v[106:107], v[88:89], s[12:13]
	v_add_f64 v[42:43], v[112:113], v[42:43]
	v_fma_f64 v[86:87], v[78:79], s[22:23], v[44:45]
	v_fma_f64 v[110:111], v[78:79], s[8:9], -v[92:93]
	v_fma_f64 v[92:93], v[78:79], s[8:9], v[92:93]
	v_fma_f64 v[44:45], v[78:79], s[22:23], -v[44:45]
	;; [unrolled: 2-line block ×4, first 2 shown]
	v_fma_f64 v[76:77], v[76:77], s[20:21], -v[100:101]
	v_mul_f64 v[100:101], v[90:91], s[16:17]
	v_add_f64 v[8:9], v[84:85], v[8:9]
	v_fma_f64 v[122:123], v[80:81], s[20:21], v[106:107]
	v_fma_f64 v[124:125], v[80:81], s[20:21], -v[106:107]
	v_fma_f64 v[106:107], v[80:81], s[0:1], v[108:109]
	v_add_f64 v[34:35], v[86:87], v[34:35]
	v_mul_f64 v[86:87], v[90:91], s[12:13]
	v_mul_f64 v[90:91], v[90:91], s[40:41]
	v_add_f64 v[28:29], v[92:93], v[28:29]
	v_add_f64 v[24:25], v[44:45], v[24:25]
	v_add_f64 v[36:37], v[98:99], v[36:37]
	v_mul_f64 v[98:99], v[88:89], s[16:17]
	v_mul_f64 v[44:45], v[88:89], s[42:43]
	;; [unrolled: 1-line block ×3, first 2 shown]
	v_add_f64 v[2:3], v[110:111], v[2:3]
	v_fma_f64 v[110:111], v[82:83], s[24:25], -v[40:41]
	v_add_f64 v[112:113], v[74:75], v[72:73]
	v_add_f64 v[96:97], v[102:103], v[96:97]
	v_fma_f64 v[102:103], v[82:83], s[2:3], v[94:95]
	v_fma_f64 v[94:95], v[82:83], s[2:3], -v[94:95]
	v_fma_f64 v[104:105], v[82:83], s[22:23], v[100:101]
	v_fma_f64 v[100:101], v[82:83], s[22:23], -v[100:101]
	v_fma_f64 v[40:41], v[82:83], s[24:25], v[40:41]
	v_add_f64 v[4:5], v[78:79], v[4:5]
	v_add_f64 v[6:7], v[76:77], v[6:7]
	;; [unrolled: 1-line block ×4, first 2 shown]
	v_fma_f64 v[92:93], v[82:83], s[20:21], -v[86:87]
	v_fma_f64 v[84:85], v[82:83], s[0:1], -v[90:91]
	v_fma_f64 v[116:117], v[82:83], s[0:1], v[90:91]
	v_fma_f64 v[114:115], v[82:83], s[20:21], v[86:87]
	v_fma_f64 v[118:119], v[80:81], s[22:23], -v[98:99]
	v_fma_f64 v[120:121], v[80:81], s[2:3], -v[44:45]
	v_fma_f64 v[72:73], v[80:81], s[24:25], v[88:89]
	v_fma_f64 v[44:45], v[80:81], s[2:3], v[44:45]
	;; [unrolled: 1-line block ×3, first 2 shown]
	v_fma_f64 v[128:129], v[80:81], s[24:25], -v[88:89]
	v_add_f64 v[74:75], v[110:111], v[10:11]
	v_add_f64 v[88:89], v[122:123], v[112:113]
	v_add_f64 v[86:87], v[94:95], v[24:25]
	v_add_f64 v[110:111], v[102:103], v[34:35]
	v_add_f64 v[82:83], v[100:101], v[22:23]
	v_add_f64 v[112:113], v[124:125], v[96:97]
	v_add_f64 v[122:123], v[40:41], v[4:5]
	v_add_f64 v[90:91], v[92:93], v[0:1]
	scratch_load_b32 v0, off, off offset:1580 ; 4-byte Folded Reload
	v_add_f64 v[94:95], v[84:85], v[2:3]
	v_add_f64 v[92:93], v[106:107], v[42:43]
	v_add_f64 v[106:107], v[104:105], v[20:21]
	v_add_f64 v[104:105], v[118:119], v[30:31]
	v_add_f64 v[108:109], v[120:121], v[36:37]
	v_add_f64 v[72:73], v[72:73], v[12:13]
	v_add_f64 v[84:85], v[44:45], v[38:39]
	v_add_f64 v[80:81], v[98:99], v[32:33]
	v_add_f64 v[114:115], v[114:115], v[26:27]
	v_add_f64 v[118:119], v[116:117], v[28:29]
	v_add_f64 v[116:117], v[126:127], v[8:9]
	v_add_f64 v[120:121], v[128:129], v[6:7]
	s_waitcnt vmcnt(0)
	v_lshlrev_b32_e32 v0, 4, v0
	ds_store_b128 v0, v[52:55]
	ds_store_b128 v0, v[72:75] offset:16
	ds_store_b128 v0, v[92:95] offset:32
	;; [unrolled: 1-line block ×16, first 2 shown]
.LBB0_13:
	s_or_b32 exec_lo, exec_lo, s33
	s_waitcnt lgkmcnt(0)
	s_barrier
	buffer_gl0_inv
	ds_load_b128 v[52:55], v200 offset:7344
	ds_load_b128 v[48:51], v200 offset:6528
	scratch_load_b128 v[4:7], off, off offset:524 ; 16-byte Folded Reload
	s_mov_b32 s0, 0xe8584caa
	s_mov_b32 s1, 0xbfebb67a
	;; [unrolled: 1-line block ×22, first 2 shown]
	s_waitcnt vmcnt(0) lgkmcnt(1)
	v_mul_f64 v[0:1], v[6:7], v[54:55]
	v_mul_f64 v[2:3], v[6:7], v[52:53]
	s_delay_alu instid0(VALU_DEP_2) | instskip(NEXT) | instid1(VALU_DEP_2)
	v_fma_f64 v[0:1], v[4:5], v[52:53], v[0:1]
	v_fma_f64 v[2:3], v[4:5], v[54:55], -v[2:3]
	ds_load_b128 v[52:55], v200 offset:14688
	ds_load_b128 v[56:59], v200 offset:15504
	scratch_load_b128 v[6:9], off, off offset:508 ; 16-byte Folded Reload
	s_waitcnt vmcnt(0) lgkmcnt(1)
	v_mul_f64 v[4:5], v[8:9], v[54:55]
	s_delay_alu instid0(VALU_DEP_1) | instskip(SKIP_1) | instid1(VALU_DEP_1)
	v_fma_f64 v[12:13], v[6:7], v[52:53], v[4:5]
	v_mul_f64 v[4:5], v[8:9], v[52:53]
	v_fma_f64 v[14:15], v[6:7], v[54:55], -v[4:5]
	ds_load_b128 v[52:55], v200 offset:8160
	ds_load_b128 v[60:63], v200 offset:8976
	scratch_load_b128 v[6:9], off, off offset:476 ; 16-byte Folded Reload
	s_waitcnt vmcnt(0) lgkmcnt(1)
	v_mul_f64 v[4:5], v[8:9], v[54:55]
	s_delay_alu instid0(VALU_DEP_1) | instskip(SKIP_1) | instid1(VALU_DEP_1)
	v_fma_f64 v[16:17], v[6:7], v[52:53], v[4:5]
	v_mul_f64 v[4:5], v[8:9], v[52:53]
	v_fma_f64 v[18:19], v[6:7], v[54:55], -v[4:5]
	scratch_load_b128 v[6:9], off, off offset:492 ; 16-byte Folded Reload
	s_waitcnt vmcnt(0)
	v_mul_f64 v[4:5], v[8:9], v[58:59]
	s_delay_alu instid0(VALU_DEP_1) | instskip(SKIP_1) | instid1(VALU_DEP_1)
	v_fma_f64 v[20:21], v[6:7], v[56:57], v[4:5]
	v_mul_f64 v[4:5], v[8:9], v[56:57]
	v_fma_f64 v[22:23], v[6:7], v[58:59], -v[4:5]
	scratch_load_b128 v[6:9], off, off offset:540 ; 16-byte Folded Reload
	ds_load_b128 v[52:55], v200 offset:16320
	ds_load_b128 v[56:59], v200 offset:17136
	s_waitcnt vmcnt(0) lgkmcnt(2)
	v_mul_f64 v[4:5], v[8:9], v[62:63]
	s_delay_alu instid0(VALU_DEP_1) | instskip(SKIP_1) | instid1(VALU_DEP_1)
	v_fma_f64 v[24:25], v[6:7], v[60:61], v[4:5]
	v_mul_f64 v[4:5], v[8:9], v[60:61]
	v_fma_f64 v[26:27], v[6:7], v[62:63], -v[4:5]
	scratch_load_b128 v[6:9], off, off offset:556 ; 16-byte Folded Reload
	s_waitcnt vmcnt(0) lgkmcnt(1)
	v_mul_f64 v[4:5], v[8:9], v[54:55]
	s_delay_alu instid0(VALU_DEP_1) | instskip(SKIP_1) | instid1(VALU_DEP_1)
	v_fma_f64 v[28:29], v[6:7], v[52:53], v[4:5]
	v_mul_f64 v[4:5], v[8:9], v[52:53]
	v_fma_f64 v[30:31], v[6:7], v[54:55], -v[4:5]
	ds_load_b128 v[52:55], v200 offset:9792
	ds_load_b128 v[60:63], v200 offset:10608
	scratch_load_b128 v[6:9], off, off offset:588 ; 16-byte Folded Reload
	s_waitcnt vmcnt(0) lgkmcnt(1)
	v_mul_f64 v[4:5], v[8:9], v[54:55]
	s_delay_alu instid0(VALU_DEP_1) | instskip(SKIP_1) | instid1(VALU_DEP_1)
	v_fma_f64 v[32:33], v[6:7], v[52:53], v[4:5]
	v_mul_f64 v[4:5], v[8:9], v[52:53]
	v_fma_f64 v[34:35], v[6:7], v[54:55], -v[4:5]
	scratch_load_b128 v[6:9], off, off offset:572 ; 16-byte Folded Reload
	s_waitcnt vmcnt(0)
	v_mul_f64 v[4:5], v[8:9], v[58:59]
	s_delay_alu instid0(VALU_DEP_1) | instskip(SKIP_1) | instid1(VALU_DEP_1)
	v_fma_f64 v[36:37], v[6:7], v[56:57], v[4:5]
	v_mul_f64 v[4:5], v[8:9], v[56:57]
	v_fma_f64 v[38:39], v[6:7], v[58:59], -v[4:5]
	scratch_load_b128 v[6:9], off, off offset:620 ; 16-byte Folded Reload
	ds_load_b128 v[52:55], v200 offset:17952
	ds_load_b128 v[56:59], v200 offset:18768
	s_waitcnt vmcnt(0) lgkmcnt(2)
	v_mul_f64 v[4:5], v[8:9], v[62:63]
	s_delay_alu instid0(VALU_DEP_1) | instskip(SKIP_1) | instid1(VALU_DEP_1)
	v_fma_f64 v[40:41], v[6:7], v[60:61], v[4:5]
	v_mul_f64 v[4:5], v[8:9], v[60:61]
	v_fma_f64 v[42:43], v[6:7], v[62:63], -v[4:5]
	;; [unrolled: 32-line block ×3, first 2 shown]
	scratch_load_b128 v[6:9], off, off offset:1036 ; 16-byte Folded Reload
	s_waitcnt vmcnt(0) lgkmcnt(1)
	v_mul_f64 v[4:5], v[8:9], v[54:55]
	s_delay_alu instid0(VALU_DEP_1) | instskip(SKIP_1) | instid1(VALU_DEP_1)
	v_fma_f64 v[96:97], v[6:7], v[52:53], v[4:5]
	v_mul_f64 v[4:5], v[8:9], v[52:53]
	v_fma_f64 v[98:99], v[6:7], v[54:55], -v[4:5]
	ds_load_b128 v[52:55], v200 offset:13056
	ds_load_b128 v[60:63], v200 offset:13872
	scratch_load_b128 v[6:9], off, off offset:1132 ; 16-byte Folded Reload
	s_waitcnt vmcnt(0) lgkmcnt(1)
	v_mul_f64 v[4:5], v[8:9], v[54:55]
	s_delay_alu instid0(VALU_DEP_1) | instskip(SKIP_1) | instid1(VALU_DEP_1)
	v_fma_f64 v[100:101], v[6:7], v[52:53], v[4:5]
	v_mul_f64 v[4:5], v[8:9], v[52:53]
	v_fma_f64 v[102:103], v[6:7], v[54:55], -v[4:5]
	s_clause 0x1
	scratch_load_b128 v[6:9], off, off offset:1100
	scratch_load_b128 v[52:55], off, off offset:1180
	s_waitcnt vmcnt(1)
	v_mul_f64 v[4:5], v[8:9], v[58:59]
	s_delay_alu instid0(VALU_DEP_1) | instskip(SKIP_1) | instid1(VALU_DEP_1)
	v_fma_f64 v[104:105], v[6:7], v[56:57], v[4:5]
	v_mul_f64 v[4:5], v[8:9], v[56:57]
	v_fma_f64 v[106:107], v[6:7], v[58:59], -v[4:5]
	scratch_load_b128 v[6:9], off, off offset:1196 ; 16-byte Folded Reload
	s_waitcnt vmcnt(0) lgkmcnt(0)
	v_mul_f64 v[4:5], v[8:9], v[62:63]
	s_delay_alu instid0(VALU_DEP_1)
	v_fma_f64 v[108:109], v[6:7], v[60:61], v[4:5]
	v_mul_f64 v[4:5], v[8:9], v[60:61]
	ds_load_b128 v[8:11], v200 offset:21216
	v_fma_f64 v[110:111], v[6:7], v[62:63], -v[4:5]
	s_waitcnt lgkmcnt(0)
	v_mul_f64 v[4:5], v[54:55], v[10:11]
	s_delay_alu instid0(VALU_DEP_1) | instskip(SKIP_1) | instid1(VALU_DEP_1)
	v_fma_f64 v[112:113], v[52:53], v[8:9], v[4:5]
	v_mul_f64 v[4:5], v[54:55], v[8:9]
	v_fma_f64 v[114:115], v[52:53], v[10:11], -v[4:5]
	v_add_f64 v[52:53], v[0:1], v[12:13]
	ds_load_b128 v[4:7], v200
	ds_load_b128 v[8:11], v200 offset:816
	ds_load_b128 v[60:63], v200 offset:1632
	;; [unrolled: 1-line block ×7, first 2 shown]
	s_waitcnt lgkmcnt(0)
	s_barrier
	buffer_gl0_inv
	v_fma_f64 v[54:55], v[52:53], -0.5, v[4:5]
	v_add_f64 v[52:53], v[2:3], v[14:15]
	v_add_f64 v[4:5], v[4:5], v[0:1]
	v_add_f64 v[0:1], v[0:1], -v[12:13]
	s_delay_alu instid0(VALU_DEP_3) | instskip(SKIP_4) | instid1(VALU_DEP_4)
	v_fma_f64 v[58:59], v[52:53], -0.5, v[6:7]
	v_add_f64 v[6:7], v[6:7], v[2:3]
	v_add_f64 v[2:3], v[2:3], -v[14:15]
	v_add_f64 v[4:5], v[4:5], v[12:13]
	v_add_f64 v[12:13], v[16:17], -v[20:21]
	v_add_f64 v[6:7], v[6:7], v[14:15]
	s_delay_alu instid0(VALU_DEP_4)
	v_fma_f64 v[52:53], v[2:3], s[0:1], v[54:55]
	v_fma_f64 v[56:57], v[2:3], s[2:3], v[54:55]
	v_fma_f64 v[54:55], v[0:1], s[2:3], v[58:59]
	v_fma_f64 v[58:59], v[0:1], s[0:1], v[58:59]
	scratch_load_b32 v0, off, off offset:956 ; 4-byte Folded Reload
	v_add_f64 v[2:3], v[18:19], v[22:23]
	s_waitcnt vmcnt(0)
	ds_store_b128 v0, v[4:7]
	ds_store_b128 v0, v[52:55] offset:272
	ds_store_b128 v0, v[56:59] offset:544
	v_add_f64 v[0:1], v[16:17], v[20:21]
	v_fma_f64 v[2:3], v[2:3], -0.5, v[10:11]
	v_add_f64 v[4:5], v[10:11], v[18:19]
	v_add_f64 v[10:11], v[18:19], -v[22:23]
	s_delay_alu instid0(VALU_DEP_4) | instskip(SKIP_1) | instid1(VALU_DEP_4)
	v_fma_f64 v[0:1], v[0:1], -0.5, v[8:9]
	v_add_f64 v[8:9], v[8:9], v[16:17]
	v_add_f64 v[6:7], v[4:5], v[22:23]
	v_fma_f64 v[54:55], v[12:13], s[0:1], v[2:3]
	s_delay_alu instid0(VALU_DEP_4) | instskip(NEXT) | instid1(VALU_DEP_4)
	v_fma_f64 v[52:53], v[10:11], s[2:3], v[0:1]
	v_add_f64 v[4:5], v[8:9], v[20:21]
	v_fma_f64 v[8:9], v[10:11], s[0:1], v[0:1]
	scratch_load_b32 v0, off, off offset:948 ; 4-byte Folded Reload
	v_fma_f64 v[10:11], v[12:13], s[2:3], v[2:3]
	v_add_f64 v[2:3], v[26:27], v[30:31]
	v_add_f64 v[12:13], v[24:25], -v[28:29]
	s_waitcnt vmcnt(0)
	ds_store_b128 v0, v[4:7]
	ds_store_b128 v0, v[8:11] offset:272
	ds_store_b128 v0, v[52:55] offset:544
	v_add_f64 v[0:1], v[24:25], v[28:29]
	v_add_f64 v[4:5], v[62:63], v[26:27]
	v_add_f64 v[8:9], v[60:61], v[24:25]
	v_add_f64 v[10:11], v[26:27], -v[30:31]
	v_fma_f64 v[2:3], v[2:3], -0.5, v[62:63]
	v_fma_f64 v[0:1], v[0:1], -0.5, v[60:61]
	v_add_f64 v[6:7], v[4:5], v[30:31]
	v_add_f64 v[4:5], v[8:9], v[28:29]
	s_delay_alu instid0(VALU_DEP_4) | instskip(NEXT) | instid1(VALU_DEP_4)
	v_fma_f64 v[54:55], v[12:13], s[0:1], v[2:3]
	v_fma_f64 v[8:9], v[10:11], s[0:1], v[0:1]
	v_fma_f64 v[52:53], v[10:11], s[2:3], v[0:1]
	scratch_load_b32 v0, off, off offset:940 ; 4-byte Folded Reload
	v_fma_f64 v[10:11], v[12:13], s[2:3], v[2:3]
	v_add_f64 v[2:3], v[34:35], v[38:39]
	v_add_f64 v[12:13], v[32:33], -v[36:37]
	s_waitcnt vmcnt(0)
	ds_store_b128 v0, v[4:7]
	ds_store_b128 v0, v[8:11] offset:272
	ds_store_b128 v0, v[52:55] offset:544
	v_add_f64 v[0:1], v[32:33], v[36:37]
	v_add_f64 v[4:5], v[66:67], v[34:35]
	v_add_f64 v[8:9], v[64:65], v[32:33]
	v_add_f64 v[10:11], v[34:35], -v[38:39]
	v_fma_f64 v[2:3], v[2:3], -0.5, v[66:67]
	v_fma_f64 v[0:1], v[0:1], -0.5, v[64:65]
	v_add_f64 v[6:7], v[4:5], v[38:39]
	v_add_f64 v[4:5], v[8:9], v[36:37]
	s_delay_alu instid0(VALU_DEP_4) | instskip(NEXT) | instid1(VALU_DEP_4)
	v_fma_f64 v[54:55], v[12:13], s[0:1], v[2:3]
	v_fma_f64 v[8:9], v[10:11], s[0:1], v[0:1]
	;; [unrolled: 20-line block ×7, first 2 shown]
	v_fma_f64 v[48:49], v[10:11], s[2:3], v[0:1]
	scratch_load_b32 v0, off, off offset:764 ; 4-byte Folded Reload
	v_fma_f64 v[10:11], v[12:13], s[2:3], v[2:3]
	s_waitcnt vmcnt(0)
	ds_store_b128 v0, v[4:7]
	ds_store_b128 v0, v[8:11] offset:272
	ds_store_b128 v0, v[48:51] offset:544
	s_waitcnt lgkmcnt(0)
	s_barrier
	buffer_gl0_inv
	ds_load_b128 v[4:7], v200 offset:2448
	ds_load_b128 v[8:11], v200 offset:1632
	scratch_load_b128 v[14:17], off, off offset:460 ; 16-byte Folded Reload
	s_waitcnt vmcnt(0) lgkmcnt(1)
	v_mul_f64 v[0:1], v[16:17], v[6:7]
	v_mul_f64 v[2:3], v[16:17], v[4:5]
	s_delay_alu instid0(VALU_DEP_2) | instskip(NEXT) | instid1(VALU_DEP_2)
	v_fma_f64 v[0:1], v[14:15], v[4:5], v[0:1]
	v_fma_f64 v[2:3], v[14:15], v[6:7], -v[2:3]
	ds_load_b128 v[4:7], v200 offset:3264
	ds_load_b128 v[48:51], v200 offset:4080
	s_waitcnt lgkmcnt(1)
	v_mul_f64 v[12:13], v[16:17], v[6:7]
	s_delay_alu instid0(VALU_DEP_1) | instskip(SKIP_1) | instid1(VALU_DEP_1)
	v_fma_f64 v[12:13], v[14:15], v[4:5], v[12:13]
	v_mul_f64 v[4:5], v[16:17], v[4:5]
	v_fma_f64 v[14:15], v[14:15], v[6:7], -v[4:5]
	ds_load_b128 v[4:7], v200 offset:4896
	ds_load_b128 v[52:55], v200 offset:5712
	scratch_load_b128 v[22:25], off, off offset:444 ; 16-byte Folded Reload
	s_waitcnt vmcnt(0) lgkmcnt(1)
	v_mul_f64 v[16:17], v[24:25], v[6:7]
	s_delay_alu instid0(VALU_DEP_1) | instskip(SKIP_1) | instid1(VALU_DEP_1)
	v_fma_f64 v[16:17], v[22:23], v[4:5], v[16:17]
	v_mul_f64 v[4:5], v[24:25], v[4:5]
	v_fma_f64 v[18:19], v[22:23], v[6:7], -v[4:5]
	s_waitcnt lgkmcnt(0)
	v_mul_f64 v[4:5], v[24:25], v[54:55]
	s_delay_alu instid0(VALU_DEP_1) | instskip(SKIP_1) | instid1(VALU_DEP_1)
	v_fma_f64 v[20:21], v[22:23], v[52:53], v[4:5]
	v_mul_f64 v[4:5], v[24:25], v[52:53]
	v_fma_f64 v[22:23], v[22:23], v[54:55], -v[4:5]
	ds_load_b128 v[4:7], v200 offset:7344
	ds_load_b128 v[52:55], v200 offset:6528
	scratch_load_b128 v[30:33], off, off offset:748 ; 16-byte Folded Reload
	s_waitcnt vmcnt(0) lgkmcnt(1)
	v_mul_f64 v[24:25], v[32:33], v[6:7]
	s_delay_alu instid0(VALU_DEP_1) | instskip(SKIP_1) | instid1(VALU_DEP_1)
	v_fma_f64 v[24:25], v[30:31], v[4:5], v[24:25]
	v_mul_f64 v[4:5], v[32:33], v[4:5]
	v_fma_f64 v[26:27], v[30:31], v[6:7], -v[4:5]
	ds_load_b128 v[4:7], v200 offset:8160
	ds_load_b128 v[56:59], v200 offset:8976
	s_waitcnt lgkmcnt(1)
	v_mul_f64 v[28:29], v[32:33], v[6:7]
	s_delay_alu instid0(VALU_DEP_1) | instskip(SKIP_1) | instid1(VALU_DEP_1)
	v_fma_f64 v[28:29], v[30:31], v[4:5], v[28:29]
	v_mul_f64 v[4:5], v[32:33], v[4:5]
	v_fma_f64 v[30:31], v[30:31], v[6:7], -v[4:5]
	ds_load_b128 v[4:7], v200 offset:9792
	ds_load_b128 v[60:63], v200 offset:10608
	scratch_load_b128 v[38:41], off, off offset:716 ; 16-byte Folded Reload
	s_waitcnt vmcnt(0) lgkmcnt(1)
	v_mul_f64 v[32:33], v[40:41], v[6:7]
	s_delay_alu instid0(VALU_DEP_1) | instskip(SKIP_1) | instid1(VALU_DEP_1)
	v_fma_f64 v[32:33], v[38:39], v[4:5], v[32:33]
	v_mul_f64 v[4:5], v[40:41], v[4:5]
	v_fma_f64 v[34:35], v[38:39], v[6:7], -v[4:5]
	s_waitcnt lgkmcnt(0)
	v_mul_f64 v[4:5], v[40:41], v[62:63]
	s_delay_alu instid0(VALU_DEP_1) | instskip(SKIP_1) | instid1(VALU_DEP_1)
	v_fma_f64 v[36:37], v[38:39], v[60:61], v[4:5]
	v_mul_f64 v[4:5], v[40:41], v[60:61]
	v_fma_f64 v[38:39], v[38:39], v[62:63], -v[4:5]
	ds_load_b128 v[4:7], v200 offset:12240
	ds_load_b128 v[60:63], v200 offset:11424
	scratch_load_b128 v[68:71], off, off offset:732 ; 16-byte Folded Reload
	s_waitcnt vmcnt(0) lgkmcnt(1)
	v_mul_f64 v[40:41], v[70:71], v[6:7]
	s_delay_alu instid0(VALU_DEP_1) | instskip(SKIP_1) | instid1(VALU_DEP_2)
	v_fma_f64 v[40:41], v[68:69], v[4:5], v[40:41]
	v_mul_f64 v[4:5], v[70:71], v[4:5]
	v_add_f64 v[126:127], v[32:33], v[40:41]
	s_delay_alu instid0(VALU_DEP_2) | instskip(SKIP_4) | instid1(VALU_DEP_1)
	v_fma_f64 v[42:43], v[68:69], v[6:7], -v[4:5]
	ds_load_b128 v[4:7], v200 offset:13056
	ds_load_b128 v[64:67], v200 offset:13872
	s_waitcnt lgkmcnt(1)
	v_mul_f64 v[44:45], v[70:71], v[6:7]
	v_fma_f64 v[44:45], v[68:69], v[4:5], v[44:45]
	v_mul_f64 v[4:5], v[70:71], v[4:5]
	s_delay_alu instid0(VALU_DEP_1)
	v_fma_f64 v[46:47], v[68:69], v[6:7], -v[4:5]
	ds_load_b128 v[4:7], v200 offset:14688
	ds_load_b128 v[68:71], v200 offset:15504
	scratch_load_b128 v[74:77], off, off offset:684 ; 16-byte Folded Reload
	s_waitcnt vmcnt(0) lgkmcnt(1)
	v_mul_f64 v[72:73], v[76:77], v[6:7]
	s_delay_alu instid0(VALU_DEP_1) | instskip(SKIP_1) | instid1(VALU_DEP_1)
	v_fma_f64 v[80:81], v[74:75], v[4:5], v[72:73]
	v_mul_f64 v[4:5], v[76:77], v[4:5]
	v_fma_f64 v[82:83], v[74:75], v[6:7], -v[4:5]
	s_waitcnt lgkmcnt(0)
	v_mul_f64 v[4:5], v[76:77], v[70:71]
	s_delay_alu instid0(VALU_DEP_1) | instskip(SKIP_1) | instid1(VALU_DEP_1)
	v_fma_f64 v[84:85], v[74:75], v[68:69], v[4:5]
	v_mul_f64 v[4:5], v[76:77], v[68:69]
	v_fma_f64 v[86:87], v[74:75], v[70:71], -v[4:5]
	ds_load_b128 v[4:7], v200 offset:17136
	ds_load_b128 v[68:71], v200 offset:16320
	scratch_load_b128 v[94:97], off, off offset:700 ; 16-byte Folded Reload
	s_waitcnt vmcnt(0) lgkmcnt(1)
	v_mul_f64 v[72:73], v[96:97], v[6:7]
	s_delay_alu instid0(VALU_DEP_1) | instskip(SKIP_1) | instid1(VALU_DEP_1)
	v_fma_f64 v[88:89], v[94:95], v[4:5], v[72:73]
	v_mul_f64 v[4:5], v[96:97], v[4:5]
	v_fma_f64 v[90:91], v[94:95], v[6:7], -v[4:5]
	ds_load_b128 v[4:7], v200 offset:17952
	ds_load_b128 v[72:75], v200 offset:18768
	s_waitcnt lgkmcnt(1)
	v_mul_f64 v[76:77], v[96:97], v[6:7]
	s_delay_alu instid0(VALU_DEP_1) | instskip(SKIP_1) | instid1(VALU_DEP_1)
	v_fma_f64 v[92:93], v[94:95], v[4:5], v[76:77]
	v_mul_f64 v[4:5], v[96:97], v[4:5]
	v_fma_f64 v[94:95], v[94:95], v[6:7], -v[4:5]
	ds_load_b128 v[4:7], v200 offset:19584
	ds_load_b128 v[76:79], v200 offset:20400
	scratch_load_b128 v[102:105], off, off offset:668 ; 16-byte Folded Reload
	s_waitcnt vmcnt(0) lgkmcnt(1)
	v_mul_f64 v[96:97], v[104:105], v[6:7]
	s_delay_alu instid0(VALU_DEP_1) | instskip(SKIP_1) | instid1(VALU_DEP_1)
	v_fma_f64 v[96:97], v[102:103], v[4:5], v[96:97]
	v_mul_f64 v[4:5], v[104:105], v[4:5]
	v_fma_f64 v[98:99], v[102:103], v[6:7], -v[4:5]
	s_waitcnt lgkmcnt(0)
	v_mul_f64 v[4:5], v[104:105], v[78:79]
	s_delay_alu instid0(VALU_DEP_1) | instskip(SKIP_1) | instid1(VALU_DEP_1)
	v_fma_f64 v[100:101], v[102:103], v[76:77], v[4:5]
	v_mul_f64 v[4:5], v[104:105], v[76:77]
	v_fma_f64 v[76:77], v[102:103], v[78:79], -v[4:5]
	scratch_load_b128 v[102:105], off, off offset:804 ; 16-byte Folded Reload
	s_waitcnt vmcnt(0)
	v_mul_f64 v[4:5], v[104:105], v[50:51]
	s_delay_alu instid0(VALU_DEP_1) | instskip(SKIP_1) | instid1(VALU_DEP_1)
	v_fma_f64 v[78:79], v[102:103], v[48:49], v[4:5]
	v_mul_f64 v[4:5], v[104:105], v[48:49]
	v_fma_f64 v[102:103], v[102:103], v[50:51], -v[4:5]
	scratch_load_b128 v[48:51], off, off offset:772 ; 16-byte Folded Reload
	s_waitcnt vmcnt(0)
	;; [unrolled: 7-line block ×4, first 2 shown]
	v_mul_f64 v[4:5], v[50:51], v[62:63]
	s_delay_alu instid0(VALU_DEP_1)
	v_fma_f64 v[112:113], v[48:49], v[60:61], v[4:5]
	v_mul_f64 v[4:5], v[50:51], v[60:61]
	v_add_f64 v[60:61], v[16:17], v[88:89]
	v_add_f64 v[16:17], v[16:17], -v[88:89]
	v_add_f64 v[88:89], v[26:27], v[82:83]
	v_add_f64 v[26:27], v[26:27], -v[82:83]
	v_fma_f64 v[114:115], v[48:49], v[62:63], -v[4:5]
	scratch_load_b128 v[48:51], off, off offset:868 ; 16-byte Folded Reload
	v_add_f64 v[62:63], v[18:19], v[90:91]
	v_add_f64 v[18:19], v[18:19], -v[90:91]
	s_waitcnt vmcnt(0)
	v_mul_f64 v[4:5], v[50:51], v[66:67]
	s_delay_alu instid0(VALU_DEP_1) | instskip(SKIP_4) | instid1(VALU_DEP_4)
	v_fma_f64 v[116:117], v[48:49], v[64:65], v[4:5]
	v_mul_f64 v[4:5], v[50:51], v[64:65]
	v_add_f64 v[64:65], v[0:1], v[96:97]
	v_add_f64 v[0:1], v[0:1], -v[96:97]
	v_add_f64 v[96:97], v[34:35], v[42:43]
	v_fma_f64 v[118:119], v[48:49], v[66:67], -v[4:5]
	scratch_load_b128 v[48:51], off, off offset:820 ; 16-byte Folded Reload
	v_add_f64 v[66:67], v[2:3], v[98:99]
	v_add_f64 v[2:3], v[2:3], -v[98:99]
	v_add_f64 v[98:99], v[24:25], v[80:81]
	v_add_f64 v[124:125], v[60:61], v[64:65]
	v_add_f64 v[24:25], v[24:25], -v[80:81]
	v_add_f64 v[90:91], v[62:63], v[66:67]
	s_waitcnt vmcnt(0)
	v_mul_f64 v[4:5], v[50:51], v[70:71]
	s_delay_alu instid0(VALU_DEP_1) | instskip(SKIP_1) | instid1(VALU_DEP_1)
	v_fma_f64 v[120:121], v[48:49], v[68:69], v[4:5]
	v_mul_f64 v[4:5], v[50:51], v[68:69]
	v_fma_f64 v[68:69], v[48:49], v[70:71], -v[4:5]
	scratch_load_b128 v[48:51], off, off offset:892 ; 16-byte Folded Reload
	s_waitcnt vmcnt(0)
	v_mul_f64 v[4:5], v[50:51], v[74:75]
	s_delay_alu instid0(VALU_DEP_1)
	v_fma_f64 v[70:71], v[48:49], v[72:73], v[4:5]
	v_mul_f64 v[4:5], v[50:51], v[72:73]
	scratch_load_b128 v[50:53], off, off offset:852 ; 16-byte Folded Reload
	v_fma_f64 v[72:73], v[48:49], v[74:75], -v[4:5]
	ds_load_b128 v[4:7], v200 offset:21216
	s_waitcnt vmcnt(0) lgkmcnt(0)
	v_mul_f64 v[48:49], v[52:53], v[6:7]
	s_delay_alu instid0(VALU_DEP_1) | instskip(SKIP_1) | instid1(VALU_DEP_1)
	v_fma_f64 v[74:75], v[50:51], v[4:5], v[48:49]
	v_mul_f64 v[4:5], v[52:53], v[4:5]
	v_fma_f64 v[122:123], v[50:51], v[6:7], -v[4:5]
	v_add_f64 v[4:5], v[88:89], v[90:91]
	s_delay_alu instid0(VALU_DEP_1) | instskip(SKIP_1) | instid1(VALU_DEP_2)
	v_add_f64 v[4:5], v[34:35], v[4:5]
	v_add_f64 v[34:35], v[34:35], -v[42:43]
	v_add_f64 v[42:43], v[42:43], v[4:5]
	v_add_f64 v[4:5], v[98:99], v[124:125]
	s_delay_alu instid0(VALU_DEP_1) | instskip(SKIP_1) | instid1(VALU_DEP_2)
	v_add_f64 v[4:5], v[32:33], v[4:5]
	v_add_f64 v[32:33], v[32:33], -v[40:41]
	v_add_f64 v[52:53], v[40:41], v[4:5]
	ds_load_b128 v[4:7], v200
	ds_load_b128 v[48:51], v200 offset:816
	v_mul_f64 v[40:41], v[0:1], s[26:27]
	s_waitcnt lgkmcnt(0)
	s_barrier
	buffer_gl0_inv
	v_add_f64 v[54:55], v[6:7], v[42:43]
	v_mul_f64 v[42:43], v[2:3], s[26:27]
	v_fma_f64 v[56:57], v[64:65], s[20:21], v[4:5]
	v_fma_f64 v[58:59], v[66:67], s[20:21], v[6:7]
	;; [unrolled: 1-line block ×4, first 2 shown]
	v_add_f64 v[52:53], v[4:5], v[52:53]
	v_fma_f64 v[40:41], v[16:17], s[12:13], v[40:41]
	v_fma_f64 v[42:43], v[18:19], s[12:13], v[42:43]
	;; [unrolled: 1-line block ×4, first 2 shown]
	s_delay_alu instid0(VALU_DEP_4) | instskip(NEXT) | instid1(VALU_DEP_4)
	v_fma_f64 v[40:41], v[24:25], s[14:15], v[40:41]
	v_fma_f64 v[42:43], v[26:27], s[14:15], v[42:43]
	s_delay_alu instid0(VALU_DEP_4) | instskip(NEXT) | instid1(VALU_DEP_4)
	v_fma_f64 v[56:57], v[98:99], -0.5, v[56:57]
	v_fma_f64 v[58:59], v[88:89], -0.5, v[58:59]
	s_delay_alu instid0(VALU_DEP_4) | instskip(NEXT) | instid1(VALU_DEP_4)
	v_fma_f64 v[40:41], v[32:33], s[18:19], v[40:41]
	v_fma_f64 v[42:43], v[34:35], s[18:19], v[42:43]
	s_delay_alu instid0(VALU_DEP_4) | instskip(NEXT) | instid1(VALU_DEP_4)
	v_fma_f64 v[56:57], v[126:127], s[16:17], v[56:57]
	v_fma_f64 v[58:59], v[96:97], s[16:17], v[58:59]
	s_delay_alu instid0(VALU_DEP_2) | instskip(NEXT) | instid1(VALU_DEP_2)
	v_add_f64 v[56:57], v[56:57], -v[42:43]
	v_add_f64 v[58:59], v[40:41], v[58:59]
	ds_store_b128 v200, v[52:55]
	v_fma_f64 v[52:53], v[42:43], 2.0, v[56:57]
	ds_store_b128 v200, v[56:59] offset:816
	v_fma_f64 v[54:55], v[40:41], -2.0, v[58:59]
	v_fma_f64 v[58:59], v[96:97], s[20:21], v[6:7]
	v_fma_f64 v[56:57], v[126:127], s[20:21], v[4:5]
	v_add_f64 v[42:43], v[6:7], v[88:89]
	v_add_f64 v[6:7], v[96:97], v[90:91]
	;; [unrolled: 1-line block ×4, first 2 shown]
	v_fma_f64 v[58:59], v[66:67], s[8:9], v[58:59]
	v_fma_f64 v[56:57], v[64:65], s[8:9], v[56:57]
	v_fma_f64 v[6:7], v[6:7], -0.5, v[42:43]
	v_add_f64 v[42:43], v[32:33], v[0:1]
	v_fma_f64 v[4:5], v[4:5], -0.5, v[40:41]
	v_add_f64 v[40:41], v[34:35], v[2:3]
	v_fma_f64 v[58:59], v[88:89], -0.5, v[58:59]
	v_fma_f64 v[56:57], v[98:99], -0.5, v[56:57]
	v_add_f64 v[42:43], v[42:43], -v[16:17]
	s_delay_alu instid0(VALU_DEP_4) | instskip(NEXT) | instid1(VALU_DEP_4)
	v_add_f64 v[40:41], v[40:41], -v[18:19]
	v_fma_f64 v[58:59], v[62:63], s[16:17], v[58:59]
	v_mul_f64 v[62:63], v[32:33], s[22:23]
	v_fma_f64 v[56:57], v[60:61], s[16:17], v[56:57]
	v_mul_f64 v[60:61], v[34:35], s[22:23]
	v_mul_f64 v[32:33], v[32:33], s[12:13]
	v_fma_f64 v[6:7], v[42:43], s[14:15], v[6:7]
	v_fma_f64 v[4:5], v[40:41], s[24:25], v[4:5]
	v_mul_f64 v[40:41], v[40:41], s[14:15]
	v_mul_f64 v[42:43], v[42:43], s[14:15]
	v_fma_f64 v[62:63], v[0:1], s[12:13], v[62:63]
	v_fma_f64 v[60:61], v[2:3], s[12:13], v[60:61]
	s_delay_alu instid0(VALU_DEP_2) | instskip(NEXT) | instid1(VALU_DEP_2)
	v_fma_f64 v[62:63], v[24:25], s[24:25], v[62:63]
	v_fma_f64 v[60:61], v[26:27], s[24:25], v[60:61]
	s_delay_alu instid0(VALU_DEP_2) | instskip(SKIP_2) | instid1(VALU_DEP_4)
	v_fma_f64 v[124:125], v[16:17], s[18:19], v[62:63]
	v_fma_f64 v[16:17], v[16:17], s[22:23], -v[32:33]
	v_mul_f64 v[32:33], v[34:35], s[12:13]
	v_fma_f64 v[90:91], v[18:19], s[18:19], v[60:61]
	v_fma_f64 v[34:35], v[96:97], s[8:9], v[82:83]
	v_fma_f64 v[60:61], v[40:41], 2.0, v[4:5]
	v_fma_f64 v[62:63], v[42:43], -2.0, v[6:7]
	v_add_f64 v[40:41], v[36:37], -v[44:45]
	v_add_f64 v[42:43], v[38:39], -v[46:47]
	v_add_f64 v[58:59], v[124:125], v[58:59]
	v_fma_f64 v[16:17], v[24:25], s[14:15], v[16:17]
	v_fma_f64 v[18:19], v[18:19], s[22:23], -v[32:33]
	v_fma_f64 v[32:33], v[126:127], s[8:9], v[80:81]
	v_add_f64 v[56:57], v[56:57], -v[90:91]
	ds_store_b128 v200, v[4:7] offset:2448
	v_fma_f64 v[6:7], v[124:125], -2.0, v[58:59]
	v_fma_f64 v[0:1], v[0:1], s[18:19], v[16:17]
	v_fma_f64 v[18:19], v[26:27], s[14:15], v[18:19]
	v_fma_f64 v[24:25], v[98:99], -0.5, v[32:33]
	ds_store_b128 v200, v[56:59] offset:1632
	v_fma_f64 v[26:27], v[88:89], -0.5, v[34:35]
	v_fma_f64 v[4:5], v[90:91], 2.0, v[56:57]
	v_add_f64 v[32:33], v[30:31], v[86:87]
	v_add_f64 v[30:31], v[30:31], -v[86:87]
	v_fma_f64 v[2:3], v[2:3], s[18:19], v[18:19]
	v_fma_f64 v[16:17], v[64:65], s[16:17], v[24:25]
	v_add_f64 v[24:25], v[14:15], v[76:77]
	v_fma_f64 v[18:19], v[66:67], s[16:17], v[26:27]
	v_add_f64 v[26:27], v[22:23], v[94:95]
	v_add_f64 v[14:15], v[14:15], -v[76:77]
	v_add_f64 v[22:23], v[22:23], -v[94:95]
	v_add_f64 v[56:57], v[16:17], -v[2:3]
	v_add_f64 v[16:17], v[28:29], v[84:85]
	v_add_f64 v[58:59], v[0:1], v[18:19]
	;; [unrolled: 1-line block ×3, first 2 shown]
	v_add_f64 v[28:29], v[28:29], -v[84:85]
	v_fma_f64 v[64:65], v[2:3], 2.0, v[56:57]
	v_add_f64 v[2:3], v[20:21], v[92:93]
	v_fma_f64 v[66:67], v[0:1], -2.0, v[58:59]
	v_add_f64 v[0:1], v[12:13], v[100:101]
	ds_store_b128 v200, v[56:59] offset:3264
	ds_store_b128 v200, v[64:67] offset:4080
	;; [unrolled: 1-line block ×4, first 2 shown]
	v_add_f64 v[6:7], v[32:33], v[34:35]
	v_add_f64 v[18:19], v[2:3], v[0:1]
	v_add_f64 v[12:13], v[12:13], -v[100:101]
	v_add_f64 v[20:21], v[20:21], -v[92:93]
	s_delay_alu instid0(VALU_DEP_4) | instskip(NEXT) | instid1(VALU_DEP_4)
	v_add_f64 v[6:7], v[38:39], v[6:7]
	v_add_f64 v[4:5], v[16:17], v[18:19]
	;; [unrolled: 1-line block ×3, first 2 shown]
	s_delay_alu instid0(VALU_DEP_3) | instskip(NEXT) | instid1(VALU_DEP_3)
	v_add_f64 v[6:7], v[46:47], v[6:7]
	v_add_f64 v[4:5], v[36:37], v[4:5]
	;; [unrolled: 1-line block ×3, first 2 shown]
	v_fma_f64 v[46:47], v[24:25], s[20:21], v[50:51]
	v_fma_f64 v[56:57], v[38:39], s[20:21], v[50:51]
	v_add_f64 v[34:35], v[38:39], v[34:35]
	v_add_f64 v[6:7], v[50:51], v[6:7]
	;; [unrolled: 1-line block ×3, first 2 shown]
	v_mul_f64 v[44:45], v[14:15], s[26:27]
	v_fma_f64 v[46:47], v[26:27], s[8:9], v[46:47]
	v_fma_f64 v[56:57], v[24:25], s[8:9], v[56:57]
	v_add_f64 v[18:19], v[36:37], v[18:19]
	v_add_f64 v[4:5], v[48:49], v[4:5]
	ds_store_b128 v200, v[4:7] offset:7344
	ds_store_b128 v200, v[52:55] offset:6528
	v_mul_f64 v[4:5], v[12:13], s[26:27]
	v_fma_f64 v[6:7], v[0:1], s[20:21], v[48:49]
	v_fma_f64 v[44:45], v[22:23], s[12:13], v[44:45]
	v_fma_f64 v[46:47], v[32:33], -0.5, v[46:47]
	v_fma_f64 v[52:53], v[36:37], s[20:21], v[48:49]
	v_mul_f64 v[54:55], v[42:43], s[22:23]
	v_fma_f64 v[56:57], v[32:33], -0.5, v[56:57]
	v_fma_f64 v[4:5], v[20:21], s[12:13], v[4:5]
	v_fma_f64 v[6:7], v[2:3], s[8:9], v[6:7]
	;; [unrolled: 1-line block ×6, first 2 shown]
	v_fma_f64 v[6:7], v[16:17], -0.5, v[6:7]
	v_fma_f64 v[44:45], v[42:43], s[18:19], v[44:45]
	v_fma_f64 v[52:53], v[16:17], -0.5, v[52:53]
	v_fma_f64 v[54:55], v[30:31], s[24:25], v[54:55]
	v_fma_f64 v[58:59], v[40:41], s[18:19], v[4:5]
	;; [unrolled: 1-line block ×4, first 2 shown]
	v_mul_f64 v[46:47], v[40:41], s[22:23]
	v_fma_f64 v[52:53], v[2:3], s[16:17], v[52:53]
	v_fma_f64 v[60:61], v[22:23], s[18:19], v[54:55]
	v_fma_f64 v[54:55], v[26:27], s[16:17], v[56:57]
	v_fma_f64 v[2:3], v[2:3], s[20:21], v[48:49]
	v_fma_f64 v[26:27], v[26:27], s[20:21], v[50:51]
	v_add_f64 v[4:5], v[4:5], -v[44:45]
	v_add_f64 v[6:7], v[58:59], v[6:7]
	v_fma_f64 v[46:47], v[12:13], s[12:13], v[46:47]
	v_add_f64 v[52:53], v[52:53], -v[60:61]
	v_fma_f64 v[2:3], v[36:37], s[8:9], v[2:3]
	v_mul_f64 v[36:37], v[40:41], s[12:13]
	v_fma_f64 v[26:27], v[38:39], s[8:9], v[26:27]
	v_add_f64 v[38:39], v[112:113], v[116:117]
	v_fma_f64 v[56:57], v[44:45], 2.0, v[4:5]
	v_add_f64 v[44:45], v[48:49], v[16:17]
	v_fma_f64 v[46:47], v[28:29], s[24:25], v[46:47]
	v_fma_f64 v[58:59], v[58:59], -2.0, v[6:7]
	v_fma_f64 v[2:3], v[16:17], -0.5, v[2:3]
	v_fma_f64 v[36:37], v[20:21], s[22:23], -v[36:37]
	v_fma_f64 v[16:17], v[32:33], -0.5, v[26:27]
	v_add_f64 v[26:27], v[40:41], v[12:13]
	v_add_f64 v[40:41], v[114:115], -v[118:119]
	v_fma_f64 v[18:19], v[18:19], -0.5, v[44:45]
	v_fma_f64 v[46:47], v[20:21], s[18:19], v[46:47]
	v_add_f64 v[44:45], v[42:43], v[14:15]
	v_mul_f64 v[42:43], v[42:43], s[12:13]
	v_fma_f64 v[0:1], v[0:1], s[16:17], v[2:3]
	v_fma_f64 v[28:29], v[28:29], s[14:15], v[36:37]
	;; [unrolled: 1-line block ×3, first 2 shown]
	v_add_f64 v[20:21], v[26:27], -v[20:21]
	v_add_f64 v[26:27], v[102:103], -v[122:123]
	;; [unrolled: 1-line block ×3, first 2 shown]
	v_add_f64 v[54:55], v[46:47], v[54:55]
	v_add_f64 v[44:45], v[44:45], -v[22:23]
	v_fma_f64 v[22:23], v[22:23], s[22:23], -v[42:43]
	ds_store_b128 v200, v[4:7] offset:8160
	v_fma_f64 v[4:5], v[60:61], 2.0, v[52:53]
	v_fma_f64 v[12:13], v[12:13], s[18:19], v[28:29]
	v_add_f64 v[28:29], v[104:105], -v[70:71]
	v_add_f64 v[42:43], v[114:115], v[118:119]
	ds_store_b128 v200, v[52:55] offset:8976
	v_fma_f64 v[6:7], v[46:47], -2.0, v[54:55]
	v_add_f64 v[46:47], v[50:51], v[32:33]
	v_fma_f64 v[22:23], v[30:31], s[14:15], v[22:23]
	v_fma_f64 v[48:49], v[44:45], s[24:25], v[18:19]
	v_add_f64 v[54:55], v[12:13], v[2:3]
	v_mul_f64 v[2:3], v[20:21], s[14:15]
	v_add_f64 v[18:19], v[102:103], v[122:123]
	v_add_f64 v[30:31], v[106:107], -v[72:73]
	v_add_f64 v[32:33], v[108:109], -v[120:121]
	v_fma_f64 v[34:35], v[34:35], -0.5, v[46:47]
	v_fma_f64 v[14:15], v[14:15], s[18:19], v[22:23]
	v_add_f64 v[22:23], v[110:111], v[68:69]
	v_mul_f64 v[46:47], v[26:27], s[26:27]
	s_delay_alu instid0(VALU_DEP_4) | instskip(NEXT) | instid1(VALU_DEP_4)
	v_fma_f64 v[50:51], v[20:21], s[14:15], v[34:35]
	v_add_f64 v[52:53], v[0:1], -v[14:15]
	v_mul_f64 v[0:1], v[44:45], s[14:15]
	v_add_f64 v[20:21], v[106:107], v[72:73]
	v_add_f64 v[34:35], v[110:111], -v[68:69]
	v_fma_f64 v[46:47], v[30:31], s[12:13], v[46:47]
	v_fma_f64 v[62:63], v[2:3], -2.0, v[50:51]
	ds_store_b128 v200, v[48:51] offset:9792
	v_fma_f64 v[60:61], v[0:1], 2.0, v[48:49]
	v_fma_f64 v[48:49], v[14:15], 2.0, v[52:53]
	v_fma_f64 v[50:51], v[12:13], -2.0, v[54:55]
	ds_store_b128 v200, v[52:55] offset:10608
	ds_store_b128 v200, v[48:51] offset:11424
	;; [unrolled: 1-line block ×5, first 2 shown]
	scratch_load_b32 v60, off, off offset:964 ; 4-byte Folded Reload
	v_add_f64 v[0:1], v[78:79], v[74:75]
	v_add_f64 v[2:3], v[78:79], -v[74:75]
	v_add_f64 v[12:13], v[104:105], v[70:71]
	v_add_f64 v[14:15], v[108:109], v[120:121]
	;; [unrolled: 1-line block ×3, first 2 shown]
	v_fma_f64 v[50:51], v[18:19], s[20:21], v[10:11]
	v_fma_f64 v[46:47], v[34:35], s[14:15], v[46:47]
	;; [unrolled: 1-line block ×3, first 2 shown]
	v_mul_f64 v[44:45], v[2:3], s[26:27]
	v_add_f64 v[16:17], v[12:13], v[0:1]
	v_add_f64 v[6:7], v[22:23], v[24:25]
	v_fma_f64 v[50:51], v[20:21], s[8:9], v[50:51]
	v_fma_f64 v[46:47], v[40:41], s[18:19], v[46:47]
	;; [unrolled: 1-line block ×4, first 2 shown]
	v_add_f64 v[4:5], v[14:15], v[16:17]
	v_add_f64 v[16:17], v[38:39], v[16:17]
	;; [unrolled: 1-line block ×3, first 2 shown]
	v_fma_f64 v[50:51], v[22:23], -0.5, v[50:51]
	v_fma_f64 v[48:49], v[14:15], -0.5, v[48:49]
	v_fma_f64 v[44:45], v[32:33], s[14:15], v[44:45]
	v_add_f64 v[4:5], v[112:113], v[4:5]
	v_add_f64 v[6:7], v[118:119], v[6:7]
	v_fma_f64 v[50:51], v[42:43], s[16:17], v[50:51]
	v_fma_f64 v[48:49], v[38:39], s[16:17], v[48:49]
	;; [unrolled: 1-line block ×3, first 2 shown]
	v_add_f64 v[4:5], v[116:117], v[4:5]
	v_add_f64 v[6:7], v[10:11], v[6:7]
	s_delay_alu instid0(VALU_DEP_4) | instskip(NEXT) | instid1(VALU_DEP_4)
	v_add_f64 v[48:49], v[48:49], -v[46:47]
	v_add_f64 v[50:51], v[44:45], v[50:51]
	s_delay_alu instid0(VALU_DEP_4)
	v_add_f64 v[4:5], v[8:9], v[4:5]
	s_waitcnt vmcnt(0)
	ds_store_b128 v60, v[4:7] offset:14688
	ds_store_b128 v60, v[48:51] offset:15504
	v_fma_f64 v[4:5], v[46:47], 2.0, v[48:49]
	v_fma_f64 v[48:49], v[38:39], s[20:21], v[8:9]
	v_fma_f64 v[6:7], v[44:45], -2.0, v[50:51]
	v_fma_f64 v[50:51], v[42:43], s[20:21], v[10:11]
	v_mul_f64 v[44:45], v[36:37], s[22:23]
	v_mul_f64 v[46:47], v[40:41], s[22:23]
	v_fma_f64 v[48:49], v[0:1], s[8:9], v[48:49]
	s_delay_alu instid0(VALU_DEP_4) | instskip(NEXT) | instid1(VALU_DEP_4)
	v_fma_f64 v[50:51], v[18:19], s[8:9], v[50:51]
	v_fma_f64 v[44:45], v[2:3], s[12:13], v[44:45]
	s_delay_alu instid0(VALU_DEP_4) | instskip(NEXT) | instid1(VALU_DEP_4)
	v_fma_f64 v[46:47], v[26:27], s[12:13], v[46:47]
	v_fma_f64 v[48:49], v[14:15], -0.5, v[48:49]
	s_delay_alu instid0(VALU_DEP_4) | instskip(NEXT) | instid1(VALU_DEP_4)
	v_fma_f64 v[50:51], v[22:23], -0.5, v[50:51]
	v_fma_f64 v[44:45], v[32:33], s[24:25], v[44:45]
	s_delay_alu instid0(VALU_DEP_4) | instskip(NEXT) | instid1(VALU_DEP_4)
	v_fma_f64 v[46:47], v[34:35], s[24:25], v[46:47]
	v_fma_f64 v[48:49], v[12:13], s[16:17], v[48:49]
	;; [unrolled: 1-line block ×3, first 2 shown]
	v_add_f64 v[8:9], v[8:9], v[14:15]
	v_fma_f64 v[50:51], v[20:21], s[16:17], v[50:51]
	v_fma_f64 v[20:21], v[20:21], s[20:21], v[10:11]
	v_add_f64 v[10:11], v[10:11], v[22:23]
	v_fma_f64 v[44:45], v[28:29], s[18:19], v[44:45]
	v_fma_f64 v[46:47], v[30:31], s[18:19], v[46:47]
	;; [unrolled: 1-line block ×3, first 2 shown]
	v_fma_f64 v[8:9], v[16:17], -0.5, v[8:9]
	v_add_f64 v[16:17], v[42:43], v[24:25]
	v_add_f64 v[24:25], v[36:37], v[2:3]
	v_add_f64 v[50:51], v[44:45], v[50:51]
	v_add_f64 v[48:49], v[48:49], -v[46:47]
	v_fma_f64 v[12:13], v[14:15], -0.5, v[12:13]
	v_fma_f64 v[10:11], v[16:17], -0.5, v[10:11]
	v_add_f64 v[16:17], v[40:41], v[26:27]
	v_add_f64 v[24:25], v[24:25], -v[28:29]
	v_fma_f64 v[54:55], v[44:45], -2.0, v[50:51]
	v_fma_f64 v[52:53], v[46:47], 2.0, v[48:49]
	v_fma_f64 v[0:1], v[0:1], s[16:17], v[12:13]
	v_add_f64 v[16:17], v[16:17], -v[30:31]
	v_fma_f64 v[10:11], v[24:25], s[14:15], v[10:11]
	v_mul_f64 v[24:25], v[24:25], s[14:15]
	s_delay_alu instid0(VALU_DEP_3)
	v_fma_f64 v[8:9], v[16:17], s[24:25], v[8:9]
	v_mul_f64 v[16:17], v[16:17], s[14:15]
	ds_store_b128 v60, v[48:51] offset:16320
	v_fma_f64 v[50:51], v[24:25], -2.0, v[10:11]
	ds_store_b128 v60, v[8:11] offset:17136
	v_fma_f64 v[48:49], v[16:17], 2.0, v[8:9]
	v_mul_f64 v[8:9], v[36:37], s[12:13]
	v_mul_f64 v[10:11], v[40:41], s[12:13]
	v_fma_f64 v[16:17], v[42:43], s[8:9], v[20:21]
	s_delay_alu instid0(VALU_DEP_3) | instskip(NEXT) | instid1(VALU_DEP_3)
	v_fma_f64 v[8:9], v[28:29], s[22:23], -v[8:9]
	v_fma_f64 v[10:11], v[30:31], s[22:23], -v[10:11]
	s_delay_alu instid0(VALU_DEP_3) | instskip(NEXT) | instid1(VALU_DEP_3)
	v_fma_f64 v[14:15], v[22:23], -0.5, v[16:17]
	v_fma_f64 v[8:9], v[32:33], s[14:15], v[8:9]
	s_delay_alu instid0(VALU_DEP_3) | instskip(NEXT) | instid1(VALU_DEP_2)
	v_fma_f64 v[10:11], v[34:35], s[14:15], v[10:11]
	v_fma_f64 v[2:3], v[2:3], s[18:19], v[8:9]
	s_delay_alu instid0(VALU_DEP_2) | instskip(SKIP_1) | instid1(VALU_DEP_2)
	v_fma_f64 v[16:17], v[26:27], s[18:19], v[10:11]
	v_fma_f64 v[10:11], v[18:19], s[16:17], v[14:15]
	v_add_f64 v[8:9], v[0:1], -v[16:17]
	s_delay_alu instid0(VALU_DEP_2) | instskip(NEXT) | instid1(VALU_DEP_2)
	v_add_f64 v[10:11], v[2:3], v[10:11]
	v_fma_f64 v[56:57], v[16:17], 2.0, v[8:9]
	s_delay_alu instid0(VALU_DEP_2)
	v_fma_f64 v[58:59], v[2:3], -2.0, v[10:11]
	ds_store_b128 v60, v[8:11] offset:17952
	ds_store_b128 v60, v[56:59] offset:18768
	;; [unrolled: 1-line block ×5, first 2 shown]
	s_waitcnt lgkmcnt(0)
	s_barrier
	buffer_gl0_inv
	ds_load_b128 v[4:7], v200 offset:7344
	ds_load_b128 v[8:11], v200 offset:6528
	scratch_load_b128 v[12:15], off, off offset:652 ; 16-byte Folded Reload
	s_waitcnt vmcnt(0) lgkmcnt(1)
	v_mul_f64 v[0:1], v[14:15], v[6:7]
	s_delay_alu instid0(VALU_DEP_1) | instskip(SKIP_1) | instid1(VALU_DEP_1)
	v_fma_f64 v[16:17], v[12:13], v[4:5], v[0:1]
	v_mul_f64 v[0:1], v[14:15], v[4:5]
	v_fma_f64 v[18:19], v[12:13], v[6:7], -v[0:1]
	ds_load_b128 v[4:7], v200 offset:14688
	ds_load_b128 v[48:51], v200 offset:15504
	scratch_load_b128 v[12:15], off, off offset:636 ; 16-byte Folded Reload
	s_waitcnt vmcnt(0) lgkmcnt(1)
	v_mul_f64 v[0:1], v[14:15], v[6:7]
	s_delay_alu instid0(VALU_DEP_1) | instskip(SKIP_1) | instid1(VALU_DEP_1)
	v_fma_f64 v[20:21], v[12:13], v[4:5], v[0:1]
	v_mul_f64 v[0:1], v[14:15], v[4:5]
	v_fma_f64 v[22:23], v[12:13], v[6:7], -v[0:1]
	ds_load_b128 v[4:7], v200 offset:8160
	ds_load_b128 v[52:55], v200 offset:8976
	scratch_load_b128 v[12:15], off, off offset:1020 ; 16-byte Folded Reload
	s_waitcnt vmcnt(0) lgkmcnt(1)
	v_mul_f64 v[0:1], v[14:15], v[6:7]
	s_delay_alu instid0(VALU_DEP_1)
	v_fma_f64 v[24:25], v[12:13], v[4:5], v[0:1]
	v_mul_f64 v[0:1], v[14:15], v[4:5]
	scratch_load_b128 v[2:5], off, off offset:1004 ; 16-byte Folded Reload
	v_fma_f64 v[26:27], v[12:13], v[6:7], -v[0:1]
	s_waitcnt vmcnt(0)
	v_mul_f64 v[0:1], v[4:5], v[50:51]
	s_delay_alu instid0(VALU_DEP_1) | instskip(SKIP_1) | instid1(VALU_DEP_1)
	v_fma_f64 v[28:29], v[2:3], v[48:49], v[0:1]
	v_mul_f64 v[0:1], v[4:5], v[48:49]
	v_fma_f64 v[30:31], v[2:3], v[50:51], -v[0:1]
	scratch_load_b128 v[2:5], off, off offset:1084 ; 16-byte Folded Reload
	s_waitcnt vmcnt(0) lgkmcnt(0)
	v_mul_f64 v[0:1], v[4:5], v[54:55]
	s_delay_alu instid0(VALU_DEP_1)
	v_fma_f64 v[36:37], v[2:3], v[52:53], v[0:1]
	v_mul_f64 v[0:1], v[4:5], v[52:53]
	ds_load_b128 v[4:7], v200 offset:16320
	ds_load_b128 v[48:51], v200 offset:17136
	scratch_load_b128 v[12:15], off, off offset:1052 ; 16-byte Folded Reload
	v_fma_f64 v[38:39], v[2:3], v[54:55], -v[0:1]
	s_waitcnt vmcnt(0) lgkmcnt(1)
	v_mul_f64 v[0:1], v[14:15], v[6:7]
	s_delay_alu instid0(VALU_DEP_1) | instskip(SKIP_1) | instid1(VALU_DEP_1)
	v_fma_f64 v[40:41], v[12:13], v[4:5], v[0:1]
	v_mul_f64 v[0:1], v[14:15], v[4:5]
	v_fma_f64 v[42:43], v[12:13], v[6:7], -v[0:1]
	ds_load_b128 v[4:7], v200 offset:9792
	ds_load_b128 v[52:55], v200 offset:10608
	scratch_load_b128 v[12:15], off, off offset:1148 ; 16-byte Folded Reload
	s_waitcnt vmcnt(0) lgkmcnt(1)
	v_mul_f64 v[0:1], v[14:15], v[6:7]
	s_delay_alu instid0(VALU_DEP_1)
	v_fma_f64 v[44:45], v[12:13], v[4:5], v[0:1]
	v_mul_f64 v[0:1], v[14:15], v[4:5]
	scratch_load_b128 v[2:5], off, off offset:1116 ; 16-byte Folded Reload
	v_fma_f64 v[46:47], v[12:13], v[6:7], -v[0:1]
	s_waitcnt vmcnt(0)
	v_mul_f64 v[0:1], v[4:5], v[50:51]
	s_delay_alu instid0(VALU_DEP_1) | instskip(SKIP_1) | instid1(VALU_DEP_1)
	v_fma_f64 v[56:57], v[2:3], v[48:49], v[0:1]
	v_mul_f64 v[0:1], v[4:5], v[48:49]
	v_fma_f64 v[48:49], v[2:3], v[50:51], -v[0:1]
	scratch_load_b128 v[2:5], off, off offset:1212 ; 16-byte Folded Reload
	s_waitcnt vmcnt(0) lgkmcnt(0)
	v_mul_f64 v[0:1], v[4:5], v[54:55]
	s_delay_alu instid0(VALU_DEP_1)
	v_fma_f64 v[60:61], v[2:3], v[52:53], v[0:1]
	v_mul_f64 v[0:1], v[4:5], v[52:53]
	ds_load_b128 v[4:7], v200 offset:17952
	ds_load_b128 v[12:15], v200 offset:18768
	scratch_load_b128 v[32:35], off, off offset:1164 ; 16-byte Folded Reload
	v_fma_f64 v[62:63], v[2:3], v[54:55], -v[0:1]
	v_add_f64 v[54:55], v[44:45], -v[56:57]
	s_waitcnt vmcnt(0) lgkmcnt(1)
	v_mul_f64 v[0:1], v[34:35], v[6:7]
	s_delay_alu instid0(VALU_DEP_1) | instskip(SKIP_1) | instid1(VALU_DEP_2)
	v_fma_f64 v[64:65], v[32:33], v[4:5], v[0:1]
	v_mul_f64 v[0:1], v[34:35], v[4:5]
	v_add_f64 v[76:77], v[60:61], v[64:65]
	s_delay_alu instid0(VALU_DEP_2)
	v_fma_f64 v[66:67], v[32:33], v[6:7], -v[0:1]
	ds_load_b128 v[0:3], v200 offset:11424
	ds_load_b128 v[4:7], v200 offset:12240
	scratch_load_b128 v[50:53], off, off offset:1244 ; 16-byte Folded Reload
	v_add_f64 v[78:79], v[62:63], v[66:67]
	s_waitcnt vmcnt(0) lgkmcnt(1)
	v_mul_f64 v[32:33], v[52:53], v[2:3]
	s_delay_alu instid0(VALU_DEP_1) | instskip(SKIP_2) | instid1(VALU_DEP_1)
	v_fma_f64 v[68:69], v[50:51], v[0:1], v[32:33]
	scratch_load_b128 v[32:35], off, off offset:1228 ; 16-byte Folded Reload
	v_mul_f64 v[0:1], v[52:53], v[0:1]
	v_fma_f64 v[70:71], v[50:51], v[2:3], -v[0:1]
	s_waitcnt vmcnt(0)
	v_mul_f64 v[0:1], v[34:35], v[14:15]
	s_delay_alu instid0(VALU_DEP_1) | instskip(SKIP_1) | instid1(VALU_DEP_1)
	v_fma_f64 v[72:73], v[32:33], v[12:13], v[0:1]
	v_mul_f64 v[0:1], v[34:35], v[12:13]
	v_fma_f64 v[74:75], v[32:33], v[14:15], -v[0:1]
	scratch_load_b128 v[12:15], off, off offset:1276 ; 16-byte Folded Reload
	s_waitcnt vmcnt(0) lgkmcnt(0)
	v_mul_f64 v[0:1], v[14:15], v[6:7]
	s_delay_alu instid0(VALU_DEP_1) | instskip(SKIP_1) | instid1(VALU_DEP_1)
	v_fma_f64 v[84:85], v[12:13], v[4:5], v[0:1]
	v_mul_f64 v[0:1], v[14:15], v[4:5]
	v_fma_f64 v[86:87], v[12:13], v[6:7], -v[0:1]
	ds_load_b128 v[0:3], v200 offset:19584
	ds_load_b128 v[4:7], v200 offset:20400
	scratch_load_b128 v[32:35], off, off offset:1260 ; 16-byte Folded Reload
	s_waitcnt vmcnt(0) lgkmcnt(1)
	v_mul_f64 v[12:13], v[34:35], v[2:3]
	s_delay_alu instid0(VALU_DEP_1) | instskip(SKIP_1) | instid1(VALU_DEP_2)
	v_fma_f64 v[88:89], v[32:33], v[0:1], v[12:13]
	v_mul_f64 v[0:1], v[34:35], v[0:1]
	v_add_f64 v[108:109], v[84:85], v[88:89]
	s_delay_alu instid0(VALU_DEP_2)
	v_fma_f64 v[90:91], v[32:33], v[2:3], -v[0:1]
	ds_load_b128 v[0:3], v200 offset:13056
	ds_load_b128 v[12:15], v200 offset:13872
	scratch_load_b128 v[50:53], off, off offset:1308 ; 16-byte Folded Reload
	v_add_f64 v[110:111], v[86:87], v[90:91]
	s_waitcnt vmcnt(0) lgkmcnt(1)
	v_mul_f64 v[32:33], v[52:53], v[2:3]
	s_delay_alu instid0(VALU_DEP_1) | instskip(SKIP_3) | instid1(VALU_DEP_2)
	v_fma_f64 v[92:93], v[50:51], v[0:1], v[32:33]
	scratch_load_b128 v[32:35], off, off offset:1292 ; 16-byte Folded Reload
	v_mul_f64 v[0:1], v[52:53], v[0:1]
	v_add_f64 v[52:53], v[38:39], v[42:43]
	v_fma_f64 v[94:95], v[50:51], v[2:3], -v[0:1]
	v_add_f64 v[50:51], v[36:37], v[40:41]
	s_waitcnt vmcnt(0)
	v_mul_f64 v[0:1], v[34:35], v[6:7]
	s_delay_alu instid0(VALU_DEP_1)
	v_fma_f64 v[96:97], v[32:33], v[4:5], v[0:1]
	v_mul_f64 v[0:1], v[34:35], v[4:5]
	scratch_load_b128 v[2:5], off, off offset:1340 ; 16-byte Folded Reload
	v_fma_f64 v[98:99], v[32:33], v[6:7], -v[0:1]
	s_waitcnt vmcnt(0) lgkmcnt(0)
	v_mul_f64 v[0:1], v[4:5], v[14:15]
	s_delay_alu instid0(VALU_DEP_1) | instskip(SKIP_1) | instid1(VALU_DEP_1)
	v_fma_f64 v[100:101], v[2:3], v[12:13], v[0:1]
	v_mul_f64 v[0:1], v[4:5], v[12:13]
	v_fma_f64 v[102:103], v[2:3], v[14:15], -v[0:1]
	scratch_load_b128 v[12:15], off, off offset:1324 ; 16-byte Folded Reload
	ds_load_b128 v[0:3], v200 offset:21216
	s_waitcnt vmcnt(0) lgkmcnt(0)
	v_mul_f64 v[4:5], v[14:15], v[2:3]
	s_delay_alu instid0(VALU_DEP_1) | instskip(SKIP_1) | instid1(VALU_DEP_1)
	v_fma_f64 v[104:105], v[12:13], v[0:1], v[4:5]
	v_mul_f64 v[0:1], v[14:15], v[0:1]
	v_fma_f64 v[106:107], v[12:13], v[2:3], -v[0:1]
	v_add_f64 v[12:13], v[16:17], v[20:21]
	ds_load_b128 v[0:3], v200
	ds_load_b128 v[4:7], v200 offset:816
	s_waitcnt lgkmcnt(1)
	v_fma_f64 v[14:15], v[12:13], -0.5, v[0:1]
	v_add_f64 v[12:13], v[18:19], v[22:23]
	v_add_f64 v[0:1], v[0:1], v[16:17]
	s_delay_alu instid0(VALU_DEP_2) | instskip(SKIP_2) | instid1(VALU_DEP_4)
	v_fma_f64 v[32:33], v[12:13], -0.5, v[2:3]
	v_add_f64 v[2:3], v[2:3], v[18:19]
	v_add_f64 v[18:19], v[18:19], -v[22:23]
	v_add_f64 v[0:1], v[0:1], v[20:21]
	v_add_f64 v[20:21], v[16:17], -v[20:21]
	s_delay_alu instid0(VALU_DEP_4) | instskip(NEXT) | instid1(VALU_DEP_4)
	v_add_f64 v[2:3], v[2:3], v[22:23]
	v_fma_f64 v[12:13], v[18:19], s[0:1], v[14:15]
	v_fma_f64 v[16:17], v[18:19], s[2:3], v[14:15]
	s_delay_alu instid0(VALU_DEP_4) | instskip(SKIP_3) | instid1(VALU_DEP_1)
	v_fma_f64 v[14:15], v[20:21], s[2:3], v[32:33]
	v_fma_f64 v[18:19], v[20:21], s[0:1], v[32:33]
	v_add_f64 v[20:21], v[24:25], v[28:29]
	s_waitcnt lgkmcnt(0)
	v_fma_f64 v[22:23], v[20:21], -0.5, v[4:5]
	v_add_f64 v[20:21], v[26:27], v[30:31]
	v_add_f64 v[4:5], v[4:5], v[24:25]
	s_delay_alu instid0(VALU_DEP_2) | instskip(SKIP_2) | instid1(VALU_DEP_4)
	v_fma_f64 v[32:33], v[20:21], -0.5, v[6:7]
	v_add_f64 v[6:7], v[6:7], v[26:27]
	v_add_f64 v[26:27], v[26:27], -v[30:31]
	v_add_f64 v[4:5], v[4:5], v[28:29]
	v_add_f64 v[28:29], v[24:25], -v[28:29]
	s_delay_alu instid0(VALU_DEP_4) | instskip(NEXT) | instid1(VALU_DEP_4)
	v_add_f64 v[6:7], v[6:7], v[30:31]
	v_fma_f64 v[20:21], v[26:27], s[0:1], v[22:23]
	v_fma_f64 v[24:25], v[26:27], s[2:3], v[22:23]
	s_delay_alu instid0(VALU_DEP_4)
	v_fma_f64 v[22:23], v[28:29], s[2:3], v[32:33]
	v_fma_f64 v[26:27], v[28:29], s[0:1], v[32:33]
	ds_load_b128 v[28:31], v200 offset:1632
	ds_load_b128 v[32:35], v200 offset:2448
	s_waitcnt lgkmcnt(1)
	v_fma_f64 v[52:53], v[52:53], -0.5, v[30:31]
	v_add_f64 v[30:31], v[30:31], v[38:39]
	v_fma_f64 v[50:51], v[50:51], -0.5, v[28:29]
	v_add_f64 v[28:29], v[28:29], v[36:37]
	v_add_f64 v[38:39], v[38:39], -v[42:43]
	s_delay_alu instid0(VALU_DEP_4) | instskip(SKIP_1) | instid1(VALU_DEP_4)
	v_add_f64 v[30:31], v[30:31], v[42:43]
	v_add_f64 v[42:43], v[36:37], -v[40:41]
	v_add_f64 v[28:29], v[28:29], v[40:41]
	s_delay_alu instid0(VALU_DEP_4)
	v_fma_f64 v[36:37], v[38:39], s[0:1], v[50:51]
	v_fma_f64 v[40:41], v[38:39], s[2:3], v[50:51]
	v_add_f64 v[50:51], v[44:45], v[56:57]
	v_fma_f64 v[38:39], v[42:43], s[2:3], v[52:53]
	v_fma_f64 v[42:43], v[42:43], s[0:1], v[52:53]
	v_add_f64 v[52:53], v[46:47], v[48:49]
	s_waitcnt lgkmcnt(0)
	s_delay_alu instid0(VALU_DEP_4) | instskip(SKIP_1) | instid1(VALU_DEP_3)
	v_fma_f64 v[50:51], v[50:51], -0.5, v[32:33]
	v_add_f64 v[32:33], v[32:33], v[44:45]
	v_fma_f64 v[52:53], v[52:53], -0.5, v[34:35]
	v_add_f64 v[34:35], v[34:35], v[46:47]
	v_add_f64 v[46:47], v[46:47], -v[48:49]
	s_delay_alu instid0(VALU_DEP_4) | instskip(NEXT) | instid1(VALU_DEP_3)
	v_add_f64 v[32:33], v[32:33], v[56:57]
	v_add_f64 v[34:35], v[34:35], v[48:49]
	s_delay_alu instid0(VALU_DEP_3)
	v_fma_f64 v[44:45], v[46:47], s[0:1], v[50:51]
	v_fma_f64 v[48:49], v[46:47], s[2:3], v[50:51]
	;; [unrolled: 1-line block ×4, first 2 shown]
	ds_load_b128 v[52:55], v200 offset:3264
	ds_load_b128 v[56:59], v200 offset:4080
	s_waitcnt lgkmcnt(1)
	v_fma_f64 v[78:79], v[78:79], -0.5, v[54:55]
	v_add_f64 v[54:55], v[54:55], v[62:63]
	v_fma_f64 v[76:77], v[76:77], -0.5, v[52:53]
	v_add_f64 v[52:53], v[52:53], v[60:61]
	v_add_f64 v[62:63], v[62:63], -v[66:67]
	s_delay_alu instid0(VALU_DEP_4) | instskip(SKIP_1) | instid1(VALU_DEP_4)
	v_add_f64 v[54:55], v[54:55], v[66:67]
	v_add_f64 v[66:67], v[60:61], -v[64:65]
	v_add_f64 v[52:53], v[52:53], v[64:65]
	s_delay_alu instid0(VALU_DEP_4)
	v_fma_f64 v[60:61], v[62:63], s[0:1], v[76:77]
	v_fma_f64 v[64:65], v[62:63], s[2:3], v[76:77]
	v_add_f64 v[76:77], v[68:69], v[72:73]
	v_fma_f64 v[62:63], v[66:67], s[2:3], v[78:79]
	v_fma_f64 v[66:67], v[66:67], s[0:1], v[78:79]
	v_add_f64 v[78:79], v[70:71], v[74:75]
	s_waitcnt lgkmcnt(0)
	s_delay_alu instid0(VALU_DEP_4) | instskip(SKIP_1) | instid1(VALU_DEP_3)
	v_fma_f64 v[76:77], v[76:77], -0.5, v[56:57]
	v_add_f64 v[56:57], v[56:57], v[68:69]
	v_fma_f64 v[78:79], v[78:79], -0.5, v[58:59]
	v_add_f64 v[58:59], v[58:59], v[70:71]
	v_add_f64 v[70:71], v[70:71], -v[74:75]
	s_delay_alu instid0(VALU_DEP_4) | instskip(NEXT) | instid1(VALU_DEP_3)
	v_add_f64 v[56:57], v[56:57], v[72:73]
	v_add_f64 v[58:59], v[58:59], v[74:75]
	v_add_f64 v[74:75], v[68:69], -v[72:73]
	s_delay_alu instid0(VALU_DEP_4) | instskip(SKIP_1) | instid1(VALU_DEP_3)
	v_fma_f64 v[68:69], v[70:71], s[0:1], v[76:77]
	v_fma_f64 v[72:73], v[70:71], s[2:3], v[76:77]
	;; [unrolled: 1-line block ×4, first 2 shown]
	ds_load_b128 v[76:79], v200 offset:4896
	ds_load_b128 v[80:83], v200 offset:5712
	s_waitcnt lgkmcnt(1)
	v_fma_f64 v[110:111], v[110:111], -0.5, v[78:79]
	v_add_f64 v[78:79], v[78:79], v[86:87]
	v_fma_f64 v[108:109], v[108:109], -0.5, v[76:77]
	v_add_f64 v[76:77], v[76:77], v[84:85]
	v_add_f64 v[86:87], v[86:87], -v[90:91]
	s_delay_alu instid0(VALU_DEP_4) | instskip(SKIP_1) | instid1(VALU_DEP_4)
	v_add_f64 v[78:79], v[78:79], v[90:91]
	v_add_f64 v[90:91], v[84:85], -v[88:89]
	v_add_f64 v[76:77], v[76:77], v[88:89]
	s_delay_alu instid0(VALU_DEP_4)
	v_fma_f64 v[84:85], v[86:87], s[0:1], v[108:109]
	v_fma_f64 v[88:89], v[86:87], s[2:3], v[108:109]
	v_add_f64 v[108:109], v[92:93], v[96:97]
	v_fma_f64 v[86:87], v[90:91], s[2:3], v[110:111]
	v_fma_f64 v[90:91], v[90:91], s[0:1], v[110:111]
	v_add_f64 v[110:111], v[94:95], v[98:99]
	s_waitcnt lgkmcnt(0)
	s_delay_alu instid0(VALU_DEP_4) | instskip(SKIP_1) | instid1(VALU_DEP_3)
	v_fma_f64 v[108:109], v[108:109], -0.5, v[80:81]
	v_add_f64 v[80:81], v[80:81], v[92:93]
	v_fma_f64 v[110:111], v[110:111], -0.5, v[82:83]
	v_add_f64 v[82:83], v[82:83], v[94:95]
	v_add_f64 v[94:95], v[94:95], -v[98:99]
	s_delay_alu instid0(VALU_DEP_4) | instskip(NEXT) | instid1(VALU_DEP_3)
	v_add_f64 v[80:81], v[80:81], v[96:97]
	v_add_f64 v[82:83], v[82:83], v[98:99]
	v_add_f64 v[98:99], v[92:93], -v[96:97]
	s_delay_alu instid0(VALU_DEP_4) | instskip(SKIP_2) | instid1(VALU_DEP_4)
	v_fma_f64 v[92:93], v[94:95], s[0:1], v[108:109]
	v_fma_f64 v[96:97], v[94:95], s[2:3], v[108:109]
	v_add_f64 v[108:109], v[100:101], v[104:105]
	v_fma_f64 v[94:95], v[98:99], s[2:3], v[110:111]
	v_fma_f64 v[98:99], v[98:99], s[0:1], v[110:111]
	v_add_f64 v[110:111], v[102:103], v[106:107]
	s_delay_alu instid0(VALU_DEP_4) | instskip(SKIP_1) | instid1(VALU_DEP_3)
	v_fma_f64 v[108:109], v[108:109], -0.5, v[8:9]
	v_add_f64 v[8:9], v[8:9], v[100:101]
	v_fma_f64 v[110:111], v[110:111], -0.5, v[10:11]
	v_add_f64 v[10:11], v[10:11], v[102:103]
	v_add_f64 v[102:103], v[102:103], -v[106:107]
	s_delay_alu instid0(VALU_DEP_4) | instskip(NEXT) | instid1(VALU_DEP_3)
	v_add_f64 v[8:9], v[8:9], v[104:105]
	v_add_f64 v[10:11], v[10:11], v[106:107]
	v_add_f64 v[106:107], v[100:101], -v[104:105]
	s_delay_alu instid0(VALU_DEP_4) | instskip(SKIP_1) | instid1(VALU_DEP_3)
	v_fma_f64 v[100:101], v[102:103], s[0:1], v[108:109]
	v_fma_f64 v[104:105], v[102:103], s[2:3], v[108:109]
	;; [unrolled: 1-line block ×4, first 2 shown]
	ds_store_b128 v200, v[0:3]
	ds_store_b128 v200, v[4:7] offset:816
	ds_store_b128 v200, v[16:19] offset:14688
	;; [unrolled: 1-line block ×26, first 2 shown]
	s_waitcnt lgkmcnt(0)
	s_barrier
	buffer_gl0_inv
	ds_load_b128 v[0:3], v200
	ds_load_b128 v[4:7], v200 offset:1296
	scratch_load_b128 v[36:39], off, off offset:188 ; 16-byte Folded Reload
	s_mov_b32 s2, 0xdee863a6
	s_mov_b32 s3, 0x3f47cbf1
	s_mul_i32 s1, s5, 0x51
	s_waitcnt vmcnt(0) lgkmcnt(1)
	v_mul_f64 v[24:25], v[38:39], v[2:3]
	v_mul_f64 v[26:27], v[38:39], v[0:1]
	scratch_load_b128 v[38:41], off, off offset:220 ; 16-byte Folded Reload
	ds_load_b128 v[8:11], v200 offset:2592
	ds_load_b128 v[12:15], v200 offset:3888
	;; [unrolled: 1-line block ×3, first 2 shown]
	s_clause 0x5
	scratch_load_b128 v[59:62], off, off offset:204
	scratch_load_b128 v[55:58], off, off offset:172
	;; [unrolled: 1-line block ×6, first 2 shown]
	ds_load_b128 v[20:23], v200 offset:6480
	scratch_load_b128 v[96:99], off, off offset:268 ; 16-byte Folded Reload
	v_fma_f64 v[24:25], v[36:37], v[0:1], v[24:25]
	scratch_load_b64 v[0:1], off, off offset:164 ; 8-byte Folded Reload
	v_fma_f64 v[26:27], v[36:37], v[2:3], -v[26:27]
	v_mul_f64 v[24:25], v[24:25], s[2:3]
	s_delay_alu instid0(VALU_DEP_2)
	v_mul_f64 v[26:27], v[26:27], s[2:3]
	s_waitcnt vmcnt(8) lgkmcnt(4)
	v_mul_f64 v[28:29], v[40:41], v[6:7]
	v_mul_f64 v[30:31], v[40:41], v[4:5]
	s_waitcnt vmcnt(7) lgkmcnt(3)
	v_mul_f64 v[32:33], v[61:62], v[10:11]
	v_mul_f64 v[34:35], v[61:62], v[8:9]
	scratch_load_b128 v[61:64], off, off offset:428 ; 16-byte Folded Reload
	s_waitcnt vmcnt(1)
	v_mov_b32_e32 v1, v0
	v_fma_f64 v[28:29], v[38:39], v[4:5], v[28:29]
	v_fma_f64 v[30:31], v[38:39], v[6:7], -v[30:31]
	v_fma_f64 v[32:33], v[59:60], v[8:9], v[32:33]
	v_fma_f64 v[34:35], v[59:60], v[10:11], -v[34:35]
	v_mad_u64_u32 v[42:43], null, s6, v1, 0
	ds_load_b128 v[4:7], v200 offset:9072
	s_mul_hi_u32 s6, s4, 0x51
	v_mov_b32_e32 v0, v43
	scratch_load_b32 v43, off, off          ; 4-byte Folded Reload
	s_waitcnt lgkmcnt(3)
	v_mul_f64 v[36:37], v[57:58], v[14:15]
	v_mul_f64 v[38:39], v[57:58], v[12:13]
	v_mad_u64_u32 v[52:53], null, s7, v1, v[0:1]
	ds_load_b128 v[0:3], v200 offset:7776
	s_add_i32 s7, s6, s1
	s_mul_i32 s6, s4, 0x51
	s_delay_alu instid0(SALU_CYCLE_1)
	s_lshl_b64 s[6:7], s[6:7], 4
	v_mul_f64 v[28:29], v[28:29], s[2:3]
	v_mul_f64 v[30:31], v[30:31], s[2:3]
	s_waitcnt vmcnt(1) lgkmcnt(3)
	v_mul_f64 v[40:41], v[63:64], v[18:19]
	v_mul_f64 v[44:45], v[63:64], v[16:17]
	scratch_load_b128 v[64:67], off, off offset:412 ; 16-byte Folded Reload
	v_fma_f64 v[58:59], v[61:62], v[18:19], -v[44:45]
	s_waitcnt vmcnt(1)
	v_mad_u64_u32 v[50:51], null, s4, v43, 0
	s_delay_alu instid0(VALU_DEP_1) | instskip(NEXT) | instid1(VALU_DEP_1)
	v_mov_b32_e32 v8, v51
	v_mad_u64_u32 v[53:54], null, s5, v43, v[8:9]
	v_mov_b32_e32 v43, v52
	ds_load_b128 v[8:11], v200 offset:10368
	s_waitcnt lgkmcnt(2)
	v_mul_f64 v[44:45], v[84:85], v[4:5]
	v_lshlrev_b64 v[42:43], 4, v[42:43]
	v_mov_b32_e32 v51, v53
	v_fma_f64 v[52:53], v[55:56], v[12:13], v[36:37]
	v_fma_f64 v[54:55], v[55:56], v[14:15], -v[38:39]
	v_fma_f64 v[56:57], v[61:62], v[16:17], v[40:41]
	v_mul_f64 v[40:41], v[84:85], v[6:7]
	s_waitcnt lgkmcnt(1)
	v_mul_f64 v[36:37], v[80:81], v[2:3]
	v_mul_f64 v[38:39], v[80:81], v[0:1]
	scratch_load_b128 v[84:87], off, off offset:284 ; 16-byte Folded Reload
	ds_load_b128 v[12:15], v200 offset:11664
	ds_load_b128 v[16:19], v200 offset:12960
	s_waitcnt lgkmcnt(2)
	v_mul_f64 v[62:63], v[92:93], v[8:9]
	v_fma_f64 v[80:81], v[82:83], v[4:5], v[40:41]
	v_mul_f64 v[40:41], v[52:53], s[2:3]
	v_fma_f64 v[82:83], v[82:83], v[6:7], -v[44:45]
	v_mul_f64 v[44:45], v[56:57], s[2:3]
	v_fma_f64 v[76:77], v[78:79], v[0:1], v[36:37]
	v_fma_f64 v[78:79], v[78:79], v[2:3], -v[38:39]
	ds_load_b128 v[0:3], v200 offset:16848
	ds_load_b128 v[36:39], v200 offset:18144
	;; [unrolled: 1-line block ×3, first 2 shown]
	v_fma_f64 v[62:63], v[90:91], v[10:11], -v[62:63]
	s_waitcnt vmcnt(1)
	v_mul_f64 v[46:47], v[66:67], v[22:23]
	v_mul_f64 v[48:49], v[66:67], v[20:21]
	s_delay_alu instid0(VALU_DEP_2) | instskip(SKIP_2) | instid1(VALU_DEP_4)
	v_fma_f64 v[60:61], v[64:65], v[20:21], v[46:47]
	v_mul_f64 v[46:47], v[92:93], v[10:11]
	v_lshlrev_b64 v[20:21], 4, v[50:51]
	v_fma_f64 v[64:65], v[64:65], v[22:23], -v[48:49]
	v_add_co_u32 v22, s0, s10, v42
	s_delay_alu instid0(VALU_DEP_1) | instskip(NEXT) | instid1(VALU_DEP_2)
	v_add_co_ci_u32_e64 v23, s0, s11, v43, s0
	v_add_co_u32 v42, s0, v22, v20
	s_delay_alu instid0(VALU_DEP_1)
	v_add_co_ci_u32_e64 v43, s0, v23, v21, s0
	ds_load_b128 v[20:23], v200 offset:14256
	v_add_co_u32 v74, s0, v42, s6
	global_store_b128 v[42:43], v[24:27], off
	v_add_co_ci_u32_e64 v75, s0, s7, v43, s0
	v_mul_f64 v[24:25], v[32:33], s[2:3]
	v_mul_f64 v[26:27], v[34:35], s[2:3]
	ds_load_b128 v[32:35], v200 offset:15552
	v_mul_f64 v[42:43], v[54:55], s[2:3]
	global_store_b128 v[74:75], v[28:31], off
	v_add_co_u32 v28, s0, v74, s6
	s_delay_alu instid0(VALU_DEP_1) | instskip(NEXT) | instid1(VALU_DEP_2)
	v_add_co_ci_u32_e64 v29, s0, s7, v75, s0
	v_add_co_u32 v30, s0, v28, s6
	s_delay_alu instid0(VALU_DEP_1) | instskip(NEXT) | instid1(VALU_DEP_2)
	v_add_co_ci_u32_e64 v31, s0, s7, v29, s0
	v_add_co_u32 v74, s0, v30, s6
	s_delay_alu instid0(VALU_DEP_1)
	v_add_co_ci_u32_e64 v75, s0, s7, v31, s0
	v_mul_f64 v[48:49], v[60:61], s[2:3]
	v_fma_f64 v[52:53], v[90:91], v[8:9], v[46:47]
	scratch_load_b128 v[90:93], off, off offset:236 ; 16-byte Folded Reload
	v_mul_f64 v[46:47], v[58:59], s[2:3]
	ds_load_b128 v[8:11], v200 offset:20736
	v_mul_f64 v[50:51], v[64:65], s[2:3]
	s_waitcnt lgkmcnt(1)
	v_mul_f64 v[58:59], v[98:99], v[34:35]
	v_mul_f64 v[60:61], v[98:99], v[32:33]
	scratch_load_b128 v[98:101], off, off offset:364 ; 16-byte Folded Reload
	global_store_b128 v[28:29], v[24:27], off
	v_add_co_u32 v24, s0, v74, s6
	s_delay_alu instid0(VALU_DEP_1)
	v_add_co_ci_u32_e64 v25, s0, s7, v75, s0
	v_fma_f64 v[26:27], v[96:97], v[32:33], v[58:59]
	v_fma_f64 v[28:29], v[96:97], v[34:35], -v[60:61]
	s_waitcnt vmcnt(1)
	v_mul_f64 v[54:55], v[92:93], v[22:23]
	v_mul_f64 v[56:57], v[92:93], v[20:21]
	scratch_load_b128 v[92:95], off, off offset:252 ; 16-byte Folded Reload
	v_mul_f64 v[66:67], v[86:87], v[14:15]
	v_mul_f64 v[68:69], v[86:87], v[12:13]
	scratch_load_b128 v[86:89], off, off offset:300 ; 16-byte Folded Reload
	v_fma_f64 v[20:21], v[90:91], v[20:21], v[54:55]
	v_fma_f64 v[22:23], v[90:91], v[22:23], -v[56:57]
	v_fma_f64 v[12:13], v[84:85], v[12:13], v[66:67]
	v_fma_f64 v[14:15], v[84:85], v[14:15], -v[68:69]
	v_mul_f64 v[68:69], v[104:105], v[38:39]
	s_waitcnt vmcnt(2)
	v_mul_f64 v[84:85], v[100:101], v[4:5]
	v_mul_f64 v[20:21], v[20:21], s[2:3]
	;; [unrolled: 1-line block ×5, first 2 shown]
	v_fma_f64 v[34:35], v[102:103], v[36:37], v[68:69]
	s_waitcnt vmcnt(1)
	v_mul_f64 v[64:65], v[94:95], v[2:3]
	v_mul_f64 v[66:67], v[94:95], v[0:1]
	s_waitcnt vmcnt(0)
	v_mul_f64 v[70:71], v[88:89], v[18:19]
	v_mul_f64 v[72:73], v[88:89], v[16:17]
	s_delay_alu instid0(VALU_DEP_3) | instskip(SKIP_1) | instid1(VALU_DEP_4)
	v_fma_f64 v[32:33], v[92:93], v[2:3], -v[66:67]
	v_mul_f64 v[2:3], v[78:79], s[2:3]
	v_fma_f64 v[16:17], v[86:87], v[16:17], v[70:71]
	v_mul_f64 v[70:71], v[104:105], v[36:37]
	scratch_load_b128 v[104:107], off, off offset:396 ; 16-byte Folded Reload
	v_fma_f64 v[18:19], v[86:87], v[18:19], -v[72:73]
	v_mul_f64 v[72:73], v[100:101], v[6:7]
	s_clause 0x1
	global_store_b128 v[30:31], v[40:43], off
	global_store_b128 v[74:75], v[44:47], off
	;; [unrolled: 1-line block ×3, first 2 shown]
	v_fma_f64 v[30:31], v[92:93], v[0:1], v[64:65]
	v_fma_f64 v[40:41], v[98:99], v[6:7], -v[84:85]
	v_mul_f64 v[0:1], v[76:77], s[2:3]
	v_mul_f64 v[6:7], v[82:83], s[2:3]
	v_add_co_u32 v46, s0, v24, s6
	s_delay_alu instid0(VALU_DEP_1) | instskip(SKIP_1) | instid1(VALU_DEP_3)
	v_add_co_ci_u32_e64 v47, s0, s7, v25, s0
	v_mul_f64 v[24:25], v[26:27], s[2:3]
	v_add_co_u32 v48, s0, v46, s6
	s_delay_alu instid0(VALU_DEP_1) | instskip(SKIP_1) | instid1(VALU_DEP_3)
	v_add_co_ci_u32_e64 v49, s0, s7, v47, s0
	v_mul_f64 v[26:27], v[28:29], s[2:3]
	v_add_co_u32 v50, s0, v48, s6
	s_delay_alu instid0(VALU_DEP_1)
	v_add_co_ci_u32_e64 v51, s0, s7, v49, s0
	v_mul_f64 v[16:17], v[16:17], s[2:3]
	v_fma_f64 v[36:37], v[102:103], v[38:39], -v[70:71]
	v_mul_f64 v[18:19], v[18:19], s[2:3]
	v_fma_f64 v[38:39], v[98:99], v[4:5], v[72:73]
	v_mul_f64 v[4:5], v[80:81], s[2:3]
	v_mul_f64 v[28:29], v[30:31], s[2:3]
	;; [unrolled: 1-line block ×4, first 2 shown]
	global_store_b128 v[46:47], v[0:3], off
	v_mul_f64 v[34:35], v[36:37], s[2:3]
	v_mul_f64 v[36:37], v[38:39], s[2:3]
	v_mul_f64 v[38:39], v[40:41], s[2:3]
	global_store_b128 v[48:49], v[4:7], off
	s_waitcnt vmcnt(0) lgkmcnt(0)
	v_mul_f64 v[86:87], v[106:107], v[10:11]
	v_mul_f64 v[88:89], v[106:107], v[8:9]
	s_delay_alu instid0(VALU_DEP_2) | instskip(NEXT) | instid1(VALU_DEP_2)
	v_fma_f64 v[42:43], v[104:105], v[8:9], v[86:87]
	v_fma_f64 v[44:45], v[104:105], v[10:11], -v[88:89]
	v_mul_f64 v[8:9], v[52:53], s[2:3]
	v_mul_f64 v[10:11], v[62:63], s[2:3]
	v_add_co_u32 v52, s0, v50, s6
	s_delay_alu instid0(VALU_DEP_1) | instskip(SKIP_2) | instid1(VALU_DEP_4)
	v_add_co_ci_u32_e64 v53, s0, s7, v51, s0
	v_mul_f64 v[40:41], v[42:43], s[2:3]
	v_mul_f64 v[42:43], v[44:45], s[2:3]
	v_add_co_u32 v44, s0, v52, s6
	s_delay_alu instid0(VALU_DEP_1) | instskip(SKIP_2) | instid1(VALU_DEP_1)
	v_add_co_ci_u32_e64 v45, s0, s7, v53, s0
	global_store_b128 v[50:51], v[8:11], off
	v_add_co_u32 v0, s0, v44, s6
	v_add_co_ci_u32_e64 v1, s0, s7, v45, s0
	global_store_b128 v[52:53], v[12:15], off
	v_add_co_u32 v2, s0, v0, s6
	s_delay_alu instid0(VALU_DEP_1) | instskip(SKIP_2) | instid1(VALU_DEP_1)
	v_add_co_ci_u32_e64 v3, s0, s7, v1, s0
	global_store_b128 v[44:45], v[16:19], off
	v_add_co_u32 v4, s0, v2, s6
	v_add_co_ci_u32_e64 v5, s0, s7, v3, s0
	global_store_b128 v[0:1], v[20:23], off
	v_add_co_u32 v6, s0, v4, s6
	s_delay_alu instid0(VALU_DEP_1) | instskip(NEXT) | instid1(VALU_DEP_2)
	v_add_co_ci_u32_e64 v7, s0, s7, v5, s0
	v_add_co_u32 v8, s0, v6, s6
	s_delay_alu instid0(VALU_DEP_1) | instskip(NEXT) | instid1(VALU_DEP_2)
	v_add_co_ci_u32_e64 v9, s0, s7, v7, s0
	v_add_co_u32 v0, s0, v8, s6
	s_delay_alu instid0(VALU_DEP_1)
	v_add_co_ci_u32_e64 v1, s0, s7, v9, s0
	global_store_b128 v[2:3], v[24:27], off
	global_store_b128 v[4:5], v[28:31], off
	;; [unrolled: 1-line block ×5, first 2 shown]
	s_and_b32 exec_lo, exec_lo, vcc_lo
	s_cbranch_execz .LBB0_15
; %bb.14:
	scratch_load_b64 v[16:17], off, off offset:140 ; 8-byte Folded Reload
	s_mul_i32 s0, s5, 0xffffb230
	s_delay_alu instid0(SALU_CYCLE_1)
	s_sub_i32 s0, s0, s4
	s_waitcnt vmcnt(0)
	global_load_b128 v[2:5], v[16:17], off offset:816
	ds_load_b128 v[6:9], v200 offset:816
	ds_load_b128 v[10:13], v200 offset:2112
	s_waitcnt vmcnt(0) lgkmcnt(1)
	v_mul_f64 v[14:15], v[8:9], v[4:5]
	v_mul_f64 v[4:5], v[6:7], v[4:5]
	s_delay_alu instid0(VALU_DEP_2) | instskip(NEXT) | instid1(VALU_DEP_2)
	v_fma_f64 v[6:7], v[6:7], v[2:3], v[14:15]
	v_fma_f64 v[4:5], v[2:3], v[8:9], -v[4:5]
	s_delay_alu instid0(VALU_DEP_2) | instskip(NEXT) | instid1(VALU_DEP_2)
	v_mul_f64 v[2:3], v[6:7], s[2:3]
	v_mul_f64 v[4:5], v[4:5], s[2:3]
	v_mad_u64_u32 v[6:7], null, 0xffffb230, s4, v[0:1]
	s_delay_alu instid0(VALU_DEP_1)
	v_add_nc_u32_e32 v7, s0, v7
	global_store_b128 v[6:7], v[2:5], off
	global_load_b128 v[0:3], v[16:17], off offset:2112
	s_waitcnt vmcnt(0) lgkmcnt(0)
	v_mul_f64 v[4:5], v[12:13], v[2:3]
	v_mul_f64 v[2:3], v[10:11], v[2:3]
	s_delay_alu instid0(VALU_DEP_2) | instskip(NEXT) | instid1(VALU_DEP_2)
	v_fma_f64 v[4:5], v[10:11], v[0:1], v[4:5]
	v_fma_f64 v[2:3], v[0:1], v[12:13], -v[2:3]
	v_add_co_u32 v12, vcc_lo, v6, s6
	v_add_co_ci_u32_e32 v13, vcc_lo, s7, v7, vcc_lo
	s_delay_alu instid0(VALU_DEP_4) | instskip(NEXT) | instid1(VALU_DEP_4)
	v_mul_f64 v[0:1], v[4:5], s[2:3]
	v_mul_f64 v[2:3], v[2:3], s[2:3]
	global_store_b128 v[12:13], v[0:3], off
	global_load_b128 v[0:3], v[16:17], off offset:3408
	ds_load_b128 v[4:7], v200 offset:3408
	ds_load_b128 v[8:11], v200 offset:4704
	scratch_load_b64 v[16:17], off, off offset:156 ; 8-byte Folded Reload
	s_waitcnt vmcnt(1) lgkmcnt(1)
	v_mul_f64 v[14:15], v[6:7], v[2:3]
	v_mul_f64 v[2:3], v[4:5], v[2:3]
	s_delay_alu instid0(VALU_DEP_2) | instskip(NEXT) | instid1(VALU_DEP_2)
	v_fma_f64 v[4:5], v[4:5], v[0:1], v[14:15]
	v_fma_f64 v[2:3], v[0:1], v[6:7], -v[2:3]
	s_delay_alu instid0(VALU_DEP_2) | instskip(NEXT) | instid1(VALU_DEP_2)
	v_mul_f64 v[0:1], v[4:5], s[2:3]
	v_mul_f64 v[2:3], v[2:3], s[2:3]
	v_add_co_u32 v4, vcc_lo, v12, s6
	v_add_co_ci_u32_e32 v5, vcc_lo, s7, v13, vcc_lo
	s_delay_alu instid0(VALU_DEP_2) | instskip(NEXT) | instid1(VALU_DEP_2)
	v_add_co_u32 v12, vcc_lo, v4, s6
	v_add_co_ci_u32_e32 v13, vcc_lo, s7, v5, vcc_lo
	global_store_b128 v[4:5], v[0:3], off
	s_waitcnt vmcnt(0)
	global_load_b128 v[0:3], v[16:17], off offset:608
	s_waitcnt vmcnt(0) lgkmcnt(0)
	v_mul_f64 v[6:7], v[10:11], v[2:3]
	v_mul_f64 v[2:3], v[8:9], v[2:3]
	s_delay_alu instid0(VALU_DEP_2) | instskip(NEXT) | instid1(VALU_DEP_2)
	v_fma_f64 v[6:7], v[8:9], v[0:1], v[6:7]
	v_fma_f64 v[2:3], v[0:1], v[10:11], -v[2:3]
	s_delay_alu instid0(VALU_DEP_2) | instskip(NEXT) | instid1(VALU_DEP_2)
	v_mul_f64 v[0:1], v[6:7], s[2:3]
	v_mul_f64 v[2:3], v[2:3], s[2:3]
	global_store_b128 v[12:13], v[0:3], off
	global_load_b128 v[0:3], v[16:17], off offset:1904
	ds_load_b128 v[4:7], v200 offset:6000
	ds_load_b128 v[8:11], v200 offset:7296
	s_waitcnt vmcnt(0) lgkmcnt(1)
	v_mul_f64 v[14:15], v[6:7], v[2:3]
	v_mul_f64 v[2:3], v[4:5], v[2:3]
	s_delay_alu instid0(VALU_DEP_2) | instskip(NEXT) | instid1(VALU_DEP_2)
	v_fma_f64 v[4:5], v[4:5], v[0:1], v[14:15]
	v_fma_f64 v[2:3], v[0:1], v[6:7], -v[2:3]
	s_delay_alu instid0(VALU_DEP_2) | instskip(NEXT) | instid1(VALU_DEP_2)
	v_mul_f64 v[0:1], v[4:5], s[2:3]
	v_mul_f64 v[2:3], v[2:3], s[2:3]
	v_add_co_u32 v4, vcc_lo, v12, s6
	v_add_co_ci_u32_e32 v5, vcc_lo, s7, v13, vcc_lo
	s_delay_alu instid0(VALU_DEP_2) | instskip(NEXT) | instid1(VALU_DEP_2)
	v_add_co_u32 v12, vcc_lo, v4, s6
	v_add_co_ci_u32_e32 v13, vcc_lo, s7, v5, vcc_lo
	global_store_b128 v[4:5], v[0:3], off
	global_load_b128 v[0:3], v[16:17], off offset:3200
	scratch_load_b64 v[16:17], off, off offset:148 ; 8-byte Folded Reload
	s_waitcnt vmcnt(1) lgkmcnt(0)
	v_mul_f64 v[6:7], v[10:11], v[2:3]
	v_mul_f64 v[2:3], v[8:9], v[2:3]
	s_delay_alu instid0(VALU_DEP_2) | instskip(NEXT) | instid1(VALU_DEP_2)
	v_fma_f64 v[6:7], v[8:9], v[0:1], v[6:7]
	v_fma_f64 v[2:3], v[0:1], v[10:11], -v[2:3]
	s_delay_alu instid0(VALU_DEP_2) | instskip(NEXT) | instid1(VALU_DEP_2)
	v_mul_f64 v[0:1], v[6:7], s[2:3]
	v_mul_f64 v[2:3], v[2:3], s[2:3]
	global_store_b128 v[12:13], v[0:3], off
	s_waitcnt vmcnt(0)
	global_load_b128 v[0:3], v[16:17], off offset:400
	ds_load_b128 v[4:7], v200 offset:8592
	ds_load_b128 v[8:11], v200 offset:9888
	s_waitcnt vmcnt(0) lgkmcnt(1)
	v_mul_f64 v[14:15], v[6:7], v[2:3]
	v_mul_f64 v[2:3], v[4:5], v[2:3]
	s_delay_alu instid0(VALU_DEP_2) | instskip(NEXT) | instid1(VALU_DEP_2)
	v_fma_f64 v[4:5], v[4:5], v[0:1], v[14:15]
	v_fma_f64 v[2:3], v[0:1], v[6:7], -v[2:3]
	s_delay_alu instid0(VALU_DEP_2) | instskip(NEXT) | instid1(VALU_DEP_2)
	v_mul_f64 v[0:1], v[4:5], s[2:3]
	v_mul_f64 v[2:3], v[2:3], s[2:3]
	v_add_co_u32 v4, vcc_lo, v12, s6
	v_add_co_ci_u32_e32 v5, vcc_lo, s7, v13, vcc_lo
	s_delay_alu instid0(VALU_DEP_2) | instskip(NEXT) | instid1(VALU_DEP_2)
	v_add_co_u32 v12, vcc_lo, v4, s6
	v_add_co_ci_u32_e32 v13, vcc_lo, s7, v5, vcc_lo
	global_store_b128 v[4:5], v[0:3], off
	global_load_b128 v[0:3], v[16:17], off offset:1696
	s_waitcnt vmcnt(0) lgkmcnt(0)
	v_mul_f64 v[6:7], v[10:11], v[2:3]
	v_mul_f64 v[2:3], v[8:9], v[2:3]
	s_delay_alu instid0(VALU_DEP_2) | instskip(NEXT) | instid1(VALU_DEP_2)
	v_fma_f64 v[6:7], v[8:9], v[0:1], v[6:7]
	v_fma_f64 v[2:3], v[0:1], v[10:11], -v[2:3]
	s_delay_alu instid0(VALU_DEP_2) | instskip(NEXT) | instid1(VALU_DEP_2)
	v_mul_f64 v[0:1], v[6:7], s[2:3]
	v_mul_f64 v[2:3], v[2:3], s[2:3]
	global_store_b128 v[12:13], v[0:3], off
	global_load_b128 v[0:3], v[16:17], off offset:2992
	ds_load_b128 v[4:7], v200 offset:11184
	ds_load_b128 v[8:11], v200 offset:12480
	scratch_load_b64 v[16:17], off, off offset:124 ; 8-byte Folded Reload
	s_waitcnt vmcnt(1) lgkmcnt(1)
	v_mul_f64 v[14:15], v[6:7], v[2:3]
	v_mul_f64 v[2:3], v[4:5], v[2:3]
	s_delay_alu instid0(VALU_DEP_2) | instskip(NEXT) | instid1(VALU_DEP_2)
	v_fma_f64 v[4:5], v[4:5], v[0:1], v[14:15]
	v_fma_f64 v[2:3], v[0:1], v[6:7], -v[2:3]
	s_delay_alu instid0(VALU_DEP_2) | instskip(NEXT) | instid1(VALU_DEP_2)
	v_mul_f64 v[0:1], v[4:5], s[2:3]
	v_mul_f64 v[2:3], v[2:3], s[2:3]
	v_add_co_u32 v4, vcc_lo, v12, s6
	v_add_co_ci_u32_e32 v5, vcc_lo, s7, v13, vcc_lo
	s_delay_alu instid0(VALU_DEP_2) | instskip(NEXT) | instid1(VALU_DEP_2)
	v_add_co_u32 v12, vcc_lo, v4, s6
	v_add_co_ci_u32_e32 v13, vcc_lo, s7, v5, vcc_lo
	global_store_b128 v[4:5], v[0:3], off
	s_waitcnt vmcnt(0)
	global_load_b128 v[0:3], v[16:17], off offset:192
	s_waitcnt vmcnt(0) lgkmcnt(0)
	v_mul_f64 v[6:7], v[10:11], v[2:3]
	v_mul_f64 v[2:3], v[8:9], v[2:3]
	s_delay_alu instid0(VALU_DEP_2) | instskip(NEXT) | instid1(VALU_DEP_2)
	v_fma_f64 v[6:7], v[8:9], v[0:1], v[6:7]
	v_fma_f64 v[2:3], v[0:1], v[10:11], -v[2:3]
	s_delay_alu instid0(VALU_DEP_2) | instskip(NEXT) | instid1(VALU_DEP_2)
	v_mul_f64 v[0:1], v[6:7], s[2:3]
	v_mul_f64 v[2:3], v[2:3], s[2:3]
	global_store_b128 v[12:13], v[0:3], off
	global_load_b128 v[0:3], v[16:17], off offset:1488
	ds_load_b128 v[4:7], v200 offset:13776
	ds_load_b128 v[8:11], v200 offset:15072
	s_waitcnt vmcnt(0) lgkmcnt(1)
	v_mul_f64 v[14:15], v[6:7], v[2:3]
	v_mul_f64 v[2:3], v[4:5], v[2:3]
	s_delay_alu instid0(VALU_DEP_2) | instskip(NEXT) | instid1(VALU_DEP_2)
	v_fma_f64 v[4:5], v[4:5], v[0:1], v[14:15]
	v_fma_f64 v[2:3], v[0:1], v[6:7], -v[2:3]
	s_delay_alu instid0(VALU_DEP_2) | instskip(NEXT) | instid1(VALU_DEP_2)
	v_mul_f64 v[0:1], v[4:5], s[2:3]
	v_mul_f64 v[2:3], v[2:3], s[2:3]
	v_add_co_u32 v4, vcc_lo, v12, s6
	v_add_co_ci_u32_e32 v5, vcc_lo, s7, v13, vcc_lo
	s_delay_alu instid0(VALU_DEP_2) | instskip(NEXT) | instid1(VALU_DEP_2)
	v_add_co_u32 v12, vcc_lo, v4, s6
	v_add_co_ci_u32_e32 v13, vcc_lo, s7, v5, vcc_lo
	global_store_b128 v[4:5], v[0:3], off
	global_load_b128 v[0:3], v[16:17], off offset:2784
	s_waitcnt vmcnt(0) lgkmcnt(0)
	v_mul_f64 v[6:7], v[10:11], v[2:3]
	v_mul_f64 v[2:3], v[8:9], v[2:3]
	s_delay_alu instid0(VALU_DEP_2) | instskip(NEXT) | instid1(VALU_DEP_2)
	v_fma_f64 v[6:7], v[8:9], v[0:1], v[6:7]
	v_fma_f64 v[2:3], v[0:1], v[10:11], -v[2:3]
	s_delay_alu instid0(VALU_DEP_2) | instskip(NEXT) | instid1(VALU_DEP_2)
	v_mul_f64 v[0:1], v[6:7], s[2:3]
	v_mul_f64 v[2:3], v[2:3], s[2:3]
	global_store_b128 v[12:13], v[0:3], off
	global_load_b128 v[0:3], v[16:17], off offset:4080
	ds_load_b128 v[4:7], v200 offset:16368
	ds_load_b128 v[8:11], v200 offset:17664
	scratch_load_b64 v[16:17], off, off offset:116 ; 8-byte Folded Reload
	s_waitcnt vmcnt(1) lgkmcnt(1)
	v_mul_f64 v[14:15], v[6:7], v[2:3]
	v_mul_f64 v[2:3], v[4:5], v[2:3]
	s_delay_alu instid0(VALU_DEP_2) | instskip(NEXT) | instid1(VALU_DEP_2)
	v_fma_f64 v[4:5], v[4:5], v[0:1], v[14:15]
	v_fma_f64 v[2:3], v[0:1], v[6:7], -v[2:3]
	s_delay_alu instid0(VALU_DEP_2) | instskip(NEXT) | instid1(VALU_DEP_2)
	v_mul_f64 v[0:1], v[4:5], s[2:3]
	v_mul_f64 v[2:3], v[2:3], s[2:3]
	v_add_co_u32 v4, vcc_lo, v12, s6
	v_add_co_ci_u32_e32 v5, vcc_lo, s7, v13, vcc_lo
	s_delay_alu instid0(VALU_DEP_2) | instskip(NEXT) | instid1(VALU_DEP_2)
	v_add_co_u32 v12, vcc_lo, v4, s6
	v_add_co_ci_u32_e32 v13, vcc_lo, s7, v5, vcc_lo
	global_store_b128 v[4:5], v[0:3], off
	s_waitcnt vmcnt(0)
	global_load_b128 v[0:3], v[16:17], off offset:1280
	s_waitcnt vmcnt(0) lgkmcnt(0)
	v_mul_f64 v[6:7], v[10:11], v[2:3]
	v_mul_f64 v[2:3], v[8:9], v[2:3]
	s_delay_alu instid0(VALU_DEP_2) | instskip(NEXT) | instid1(VALU_DEP_2)
	v_fma_f64 v[6:7], v[8:9], v[0:1], v[6:7]
	v_fma_f64 v[2:3], v[0:1], v[10:11], -v[2:3]
	s_delay_alu instid0(VALU_DEP_2) | instskip(NEXT) | instid1(VALU_DEP_2)
	v_mul_f64 v[0:1], v[6:7], s[2:3]
	v_mul_f64 v[2:3], v[2:3], s[2:3]
	global_store_b128 v[12:13], v[0:3], off
	global_load_b128 v[0:3], v[16:17], off offset:2576
	ds_load_b128 v[4:7], v200 offset:18960
	ds_load_b128 v[8:11], v200 offset:20256
	s_waitcnt vmcnt(0) lgkmcnt(1)
	v_mul_f64 v[14:15], v[6:7], v[2:3]
	v_mul_f64 v[2:3], v[4:5], v[2:3]
	s_delay_alu instid0(VALU_DEP_2) | instskip(NEXT) | instid1(VALU_DEP_2)
	v_fma_f64 v[4:5], v[4:5], v[0:1], v[14:15]
	v_fma_f64 v[2:3], v[0:1], v[6:7], -v[2:3]
	s_delay_alu instid0(VALU_DEP_2) | instskip(NEXT) | instid1(VALU_DEP_2)
	v_mul_f64 v[0:1], v[4:5], s[2:3]
	v_mul_f64 v[2:3], v[2:3], s[2:3]
	v_add_co_u32 v4, vcc_lo, v12, s6
	v_add_co_ci_u32_e32 v5, vcc_lo, s7, v13, vcc_lo
	global_store_b128 v[4:5], v[0:3], off
	global_load_b128 v[0:3], v[16:17], off offset:3872
	s_waitcnt vmcnt(0) lgkmcnt(0)
	v_mul_f64 v[6:7], v[10:11], v[2:3]
	v_mul_f64 v[2:3], v[8:9], v[2:3]
	s_delay_alu instid0(VALU_DEP_2) | instskip(NEXT) | instid1(VALU_DEP_2)
	v_fma_f64 v[6:7], v[8:9], v[0:1], v[6:7]
	v_fma_f64 v[2:3], v[0:1], v[10:11], -v[2:3]
	v_add_co_u32 v8, vcc_lo, v4, s6
	v_add_co_ci_u32_e32 v9, vcc_lo, s7, v5, vcc_lo
	s_delay_alu instid0(VALU_DEP_4) | instskip(NEXT) | instid1(VALU_DEP_4)
	v_mul_f64 v[0:1], v[6:7], s[2:3]
	v_mul_f64 v[2:3], v[2:3], s[2:3]
	ds_load_b128 v[4:7], v200 offset:21552
	global_store_b128 v[8:9], v[0:3], off
	scratch_load_b64 v[0:1], off, off offset:132 ; 8-byte Folded Reload
	s_waitcnt vmcnt(0)
	global_load_b128 v[0:3], v[0:1], off offset:1072
	s_waitcnt vmcnt(0) lgkmcnt(0)
	v_mul_f64 v[10:11], v[6:7], v[2:3]
	v_mul_f64 v[2:3], v[4:5], v[2:3]
	s_delay_alu instid0(VALU_DEP_2) | instskip(NEXT) | instid1(VALU_DEP_2)
	v_fma_f64 v[4:5], v[4:5], v[0:1], v[10:11]
	v_fma_f64 v[2:3], v[0:1], v[6:7], -v[2:3]
	s_delay_alu instid0(VALU_DEP_2) | instskip(NEXT) | instid1(VALU_DEP_2)
	v_mul_f64 v[0:1], v[4:5], s[2:3]
	v_mul_f64 v[2:3], v[2:3], s[2:3]
	v_add_co_u32 v4, vcc_lo, v8, s6
	v_add_co_ci_u32_e32 v5, vcc_lo, s7, v9, vcc_lo
	global_store_b128 v[4:5], v[0:3], off
.LBB0_15:
	s_nop 0
	s_sendmsg sendmsg(MSG_DEALLOC_VGPRS)
	s_endpgm
	.section	.rodata,"a",@progbits
	.p2align	6, 0x0
	.amdhsa_kernel bluestein_single_back_len1377_dim1_dp_op_CI_CI
		.amdhsa_group_segment_fixed_size 22032
		.amdhsa_private_segment_fixed_size 1764
		.amdhsa_kernarg_size 104
		.amdhsa_user_sgpr_count 15
		.amdhsa_user_sgpr_dispatch_ptr 0
		.amdhsa_user_sgpr_queue_ptr 0
		.amdhsa_user_sgpr_kernarg_segment_ptr 1
		.amdhsa_user_sgpr_dispatch_id 0
		.amdhsa_user_sgpr_private_segment_size 0
		.amdhsa_wavefront_size32 1
		.amdhsa_uses_dynamic_stack 0
		.amdhsa_enable_private_segment 1
		.amdhsa_system_sgpr_workgroup_id_x 1
		.amdhsa_system_sgpr_workgroup_id_y 0
		.amdhsa_system_sgpr_workgroup_id_z 0
		.amdhsa_system_sgpr_workgroup_info 0
		.amdhsa_system_vgpr_workitem_id 0
		.amdhsa_next_free_vgpr 256
		.amdhsa_next_free_sgpr 60
		.amdhsa_reserve_vcc 1
		.amdhsa_float_round_mode_32 0
		.amdhsa_float_round_mode_16_64 0
		.amdhsa_float_denorm_mode_32 3
		.amdhsa_float_denorm_mode_16_64 3
		.amdhsa_dx10_clamp 1
		.amdhsa_ieee_mode 1
		.amdhsa_fp16_overflow 0
		.amdhsa_workgroup_processor_mode 1
		.amdhsa_memory_ordered 1
		.amdhsa_forward_progress 0
		.amdhsa_shared_vgpr_count 0
		.amdhsa_exception_fp_ieee_invalid_op 0
		.amdhsa_exception_fp_denorm_src 0
		.amdhsa_exception_fp_ieee_div_zero 0
		.amdhsa_exception_fp_ieee_overflow 0
		.amdhsa_exception_fp_ieee_underflow 0
		.amdhsa_exception_fp_ieee_inexact 0
		.amdhsa_exception_int_div_zero 0
	.end_amdhsa_kernel
	.text
.Lfunc_end0:
	.size	bluestein_single_back_len1377_dim1_dp_op_CI_CI, .Lfunc_end0-bluestein_single_back_len1377_dim1_dp_op_CI_CI
                                        ; -- End function
	.section	.AMDGPU.csdata,"",@progbits
; Kernel info:
; codeLenInByte = 59520
; NumSgprs: 62
; NumVgprs: 256
; ScratchSize: 1764
; MemoryBound: 0
; FloatMode: 240
; IeeeMode: 1
; LDSByteSize: 22032 bytes/workgroup (compile time only)
; SGPRBlocks: 7
; VGPRBlocks: 31
; NumSGPRsForWavesPerEU: 62
; NumVGPRsForWavesPerEU: 256
; Occupancy: 3
; WaveLimiterHint : 1
; COMPUTE_PGM_RSRC2:SCRATCH_EN: 1
; COMPUTE_PGM_RSRC2:USER_SGPR: 15
; COMPUTE_PGM_RSRC2:TRAP_HANDLER: 0
; COMPUTE_PGM_RSRC2:TGID_X_EN: 1
; COMPUTE_PGM_RSRC2:TGID_Y_EN: 0
; COMPUTE_PGM_RSRC2:TGID_Z_EN: 0
; COMPUTE_PGM_RSRC2:TIDIG_COMP_CNT: 0
	.text
	.p2alignl 7, 3214868480
	.fill 96, 4, 3214868480
	.type	__hip_cuid_1b3aacc3efc0f557,@object ; @__hip_cuid_1b3aacc3efc0f557
	.section	.bss,"aw",@nobits
	.globl	__hip_cuid_1b3aacc3efc0f557
__hip_cuid_1b3aacc3efc0f557:
	.byte	0                               ; 0x0
	.size	__hip_cuid_1b3aacc3efc0f557, 1

	.ident	"AMD clang version 19.0.0git (https://github.com/RadeonOpenCompute/llvm-project roc-6.4.0 25133 c7fe45cf4b819c5991fe208aaa96edf142730f1d)"
	.section	".note.GNU-stack","",@progbits
	.addrsig
	.addrsig_sym __hip_cuid_1b3aacc3efc0f557
	.amdgpu_metadata
---
amdhsa.kernels:
  - .args:
      - .actual_access:  read_only
        .address_space:  global
        .offset:         0
        .size:           8
        .value_kind:     global_buffer
      - .actual_access:  read_only
        .address_space:  global
        .offset:         8
        .size:           8
        .value_kind:     global_buffer
      - .actual_access:  read_only
        .address_space:  global
        .offset:         16
        .size:           8
        .value_kind:     global_buffer
      - .actual_access:  read_only
        .address_space:  global
        .offset:         24
        .size:           8
        .value_kind:     global_buffer
      - .actual_access:  read_only
        .address_space:  global
        .offset:         32
        .size:           8
        .value_kind:     global_buffer
      - .offset:         40
        .size:           8
        .value_kind:     by_value
      - .address_space:  global
        .offset:         48
        .size:           8
        .value_kind:     global_buffer
      - .address_space:  global
        .offset:         56
        .size:           8
        .value_kind:     global_buffer
      - .address_space:  global
        .offset:         64
        .size:           8
        .value_kind:     global_buffer
      - .address_space:  global
        .offset:         72
        .size:           8
        .value_kind:     global_buffer
      - .offset:         80
        .size:           4
        .value_kind:     by_value
      - .address_space:  global
        .offset:         88
        .size:           8
        .value_kind:     global_buffer
      - .address_space:  global
        .offset:         96
        .size:           8
        .value_kind:     global_buffer
    .group_segment_fixed_size: 22032
    .kernarg_segment_align: 8
    .kernarg_segment_size: 104
    .language:       OpenCL C
    .language_version:
      - 2
      - 0
    .max_flat_workgroup_size: 51
    .name:           bluestein_single_back_len1377_dim1_dp_op_CI_CI
    .private_segment_fixed_size: 1764
    .sgpr_count:     62
    .sgpr_spill_count: 0
    .symbol:         bluestein_single_back_len1377_dim1_dp_op_CI_CI.kd
    .uniform_work_group_size: 1
    .uses_dynamic_stack: false
    .vgpr_count:     256
    .vgpr_spill_count: 670
    .wavefront_size: 32
    .workgroup_processor_mode: 1
amdhsa.target:   amdgcn-amd-amdhsa--gfx1100
amdhsa.version:
  - 1
  - 2
...

	.end_amdgpu_metadata
